;; amdgpu-corpus repo=ROCm/rocFFT kind=compiled arch=gfx906 opt=O3
	.text
	.amdgcn_target "amdgcn-amd-amdhsa--gfx906"
	.amdhsa_code_object_version 6
	.protected	fft_rtc_back_len1360_factors_17_5_16_wgs_255_tpt_85_halfLds_dp_op_CI_CI_unitstride_sbrr_C2R_dirReg ; -- Begin function fft_rtc_back_len1360_factors_17_5_16_wgs_255_tpt_85_halfLds_dp_op_CI_CI_unitstride_sbrr_C2R_dirReg
	.globl	fft_rtc_back_len1360_factors_17_5_16_wgs_255_tpt_85_halfLds_dp_op_CI_CI_unitstride_sbrr_C2R_dirReg
	.p2align	8
	.type	fft_rtc_back_len1360_factors_17_5_16_wgs_255_tpt_85_halfLds_dp_op_CI_CI_unitstride_sbrr_C2R_dirReg,@function
fft_rtc_back_len1360_factors_17_5_16_wgs_255_tpt_85_halfLds_dp_op_CI_CI_unitstride_sbrr_C2R_dirReg: ; @fft_rtc_back_len1360_factors_17_5_16_wgs_255_tpt_85_halfLds_dp_op_CI_CI_unitstride_sbrr_C2R_dirReg
; %bb.0:
	s_load_dwordx4 s[8:11], s[4:5], 0x58
	s_load_dwordx4 s[12:15], s[4:5], 0x0
	;; [unrolled: 1-line block ×3, first 2 shown]
	v_mul_u32_u24_e32 v1, 0x304, v0
	s_mov_b64 s[62:63], s[2:3]
	v_lshrrev_b32_e32 v1, 16, v1
	s_mov_b64 s[60:61], s[0:1]
	v_mad_u64_u32 v[3:4], s[0:1], s6, 3, v[1:2]
	v_mov_b32_e32 v5, 0
	v_mov_b32_e32 v1, 0
	;; [unrolled: 1-line block ×3, first 2 shown]
	s_waitcnt lgkmcnt(0)
	v_cmp_lt_u64_e64 s[0:1], s[14:15], 2
	v_mov_b32_e32 v2, 0
	s_add_u32 s60, s60, s7
	v_mov_b32_e32 v105, v2
	v_mov_b32_e32 v109, v4
	s_addc_u32 s61, s61, 0
	s_and_b64 vcc, exec, s[0:1]
	v_mov_b32_e32 v104, v1
	v_mov_b32_e32 v108, v3
	s_cbranch_vccnz .LBB0_8
; %bb.1:
	s_load_dwordx2 s[0:1], s[4:5], 0x10
	s_add_u32 s2, s18, 8
	s_addc_u32 s3, s19, 0
	s_add_u32 s6, s16, 8
	v_mov_b32_e32 v1, 0
	s_addc_u32 s7, s17, 0
	v_mov_b32_e32 v2, 0
	s_waitcnt lgkmcnt(0)
	s_add_u32 s20, s0, 8
	v_mov_b32_e32 v105, v2
	v_mov_b32_e32 v8, v4
	s_addc_u32 s21, s1, 0
	s_mov_b64 s[22:23], 1
	v_mov_b32_e32 v104, v1
	v_mov_b32_e32 v7, v3
.LBB0_2:                                ; =>This Inner Loop Header: Depth=1
	s_load_dwordx2 s[24:25], s[20:21], 0x0
                                        ; implicit-def: $vgpr108_vgpr109
	s_waitcnt lgkmcnt(0)
	v_or_b32_e32 v6, s25, v8
	v_cmp_ne_u64_e32 vcc, 0, v[5:6]
	s_and_saveexec_b64 s[0:1], vcc
	s_xor_b64 s[26:27], exec, s[0:1]
	s_cbranch_execz .LBB0_4
; %bb.3:                                ;   in Loop: Header=BB0_2 Depth=1
	v_cvt_f32_u32_e32 v4, s24
	v_cvt_f32_u32_e32 v6, s25
	s_sub_u32 s0, 0, s24
	s_subb_u32 s1, 0, s25
	v_mac_f32_e32 v4, 0x4f800000, v6
	v_rcp_f32_e32 v4, v4
	v_mul_f32_e32 v4, 0x5f7ffffc, v4
	v_mul_f32_e32 v6, 0x2f800000, v4
	v_trunc_f32_e32 v6, v6
	v_mac_f32_e32 v4, 0xcf800000, v6
	v_cvt_u32_f32_e32 v6, v6
	v_cvt_u32_f32_e32 v4, v4
	v_mul_lo_u32 v9, s0, v6
	v_mul_hi_u32 v10, s0, v4
	v_mul_lo_u32 v12, s1, v4
	v_mul_lo_u32 v11, s0, v4
	v_add_u32_e32 v9, v10, v9
	v_add_u32_e32 v9, v9, v12
	v_mul_hi_u32 v10, v4, v11
	v_mul_lo_u32 v12, v4, v9
	v_mul_hi_u32 v14, v4, v9
	v_mul_hi_u32 v13, v6, v11
	v_mul_lo_u32 v11, v6, v11
	v_mul_hi_u32 v15, v6, v9
	v_add_co_u32_e32 v10, vcc, v10, v12
	v_addc_co_u32_e32 v12, vcc, 0, v14, vcc
	v_mul_lo_u32 v9, v6, v9
	v_add_co_u32_e32 v10, vcc, v10, v11
	v_addc_co_u32_e32 v10, vcc, v12, v13, vcc
	v_addc_co_u32_e32 v11, vcc, 0, v15, vcc
	v_add_co_u32_e32 v9, vcc, v10, v9
	v_addc_co_u32_e32 v10, vcc, 0, v11, vcc
	v_add_co_u32_e32 v4, vcc, v4, v9
	v_addc_co_u32_e32 v6, vcc, v6, v10, vcc
	v_mul_lo_u32 v9, s0, v6
	v_mul_hi_u32 v10, s0, v4
	v_mul_lo_u32 v11, s1, v4
	v_mul_lo_u32 v12, s0, v4
	v_add_u32_e32 v9, v10, v9
	v_add_u32_e32 v9, v9, v11
	v_mul_lo_u32 v13, v4, v9
	v_mul_hi_u32 v14, v4, v12
	v_mul_hi_u32 v15, v4, v9
	;; [unrolled: 1-line block ×3, first 2 shown]
	v_mul_lo_u32 v12, v6, v12
	v_mul_hi_u32 v10, v6, v9
	v_add_co_u32_e32 v13, vcc, v14, v13
	v_addc_co_u32_e32 v14, vcc, 0, v15, vcc
	v_mul_lo_u32 v9, v6, v9
	v_add_co_u32_e32 v12, vcc, v13, v12
	v_addc_co_u32_e32 v11, vcc, v14, v11, vcc
	v_addc_co_u32_e32 v10, vcc, 0, v10, vcc
	v_add_co_u32_e32 v9, vcc, v11, v9
	v_addc_co_u32_e32 v10, vcc, 0, v10, vcc
	v_add_co_u32_e32 v4, vcc, v4, v9
	v_addc_co_u32_e32 v6, vcc, v6, v10, vcc
	v_mad_u64_u32 v[9:10], s[0:1], v7, v6, 0
	v_mul_hi_u32 v11, v7, v4
	v_add_co_u32_e32 v13, vcc, v11, v9
	v_addc_co_u32_e32 v14, vcc, 0, v10, vcc
	v_mad_u64_u32 v[9:10], s[0:1], v8, v4, 0
	v_mad_u64_u32 v[11:12], s[0:1], v8, v6, 0
	v_add_co_u32_e32 v4, vcc, v13, v9
	v_addc_co_u32_e32 v4, vcc, v14, v10, vcc
	v_addc_co_u32_e32 v6, vcc, 0, v12, vcc
	v_add_co_u32_e32 v4, vcc, v4, v11
	v_addc_co_u32_e32 v6, vcc, 0, v6, vcc
	v_mul_lo_u32 v11, s25, v4
	v_mul_lo_u32 v12, s24, v6
	v_mad_u64_u32 v[9:10], s[0:1], s24, v4, 0
	v_add3_u32 v10, v10, v12, v11
	v_sub_u32_e32 v11, v8, v10
	v_mov_b32_e32 v12, s25
	v_sub_co_u32_e32 v9, vcc, v7, v9
	v_subb_co_u32_e64 v11, s[0:1], v11, v12, vcc
	v_subrev_co_u32_e64 v12, s[0:1], s24, v9
	v_subbrev_co_u32_e64 v11, s[0:1], 0, v11, s[0:1]
	v_cmp_le_u32_e64 s[0:1], s25, v11
	v_cndmask_b32_e64 v13, 0, -1, s[0:1]
	v_cmp_le_u32_e64 s[0:1], s24, v12
	v_cndmask_b32_e64 v12, 0, -1, s[0:1]
	v_cmp_eq_u32_e64 s[0:1], s25, v11
	v_cndmask_b32_e64 v11, v13, v12, s[0:1]
	v_add_co_u32_e64 v12, s[0:1], 2, v4
	v_addc_co_u32_e64 v13, s[0:1], 0, v6, s[0:1]
	v_add_co_u32_e64 v14, s[0:1], 1, v4
	v_addc_co_u32_e64 v15, s[0:1], 0, v6, s[0:1]
	v_subb_co_u32_e32 v10, vcc, v8, v10, vcc
	v_cmp_ne_u32_e64 s[0:1], 0, v11
	v_cmp_le_u32_e32 vcc, s25, v10
	v_cndmask_b32_e64 v11, v15, v13, s[0:1]
	v_cndmask_b32_e64 v13, 0, -1, vcc
	v_cmp_le_u32_e32 vcc, s24, v9
	v_cndmask_b32_e64 v9, 0, -1, vcc
	v_cmp_eq_u32_e32 vcc, s25, v10
	v_cndmask_b32_e32 v9, v13, v9, vcc
	v_cmp_ne_u32_e32 vcc, 0, v9
	v_cndmask_b32_e32 v109, v6, v11, vcc
	v_cndmask_b32_e64 v6, v14, v12, s[0:1]
	v_cndmask_b32_e32 v108, v4, v6, vcc
.LBB0_4:                                ;   in Loop: Header=BB0_2 Depth=1
	s_andn2_saveexec_b64 s[0:1], s[26:27]
	s_cbranch_execz .LBB0_6
; %bb.5:                                ;   in Loop: Header=BB0_2 Depth=1
	v_cvt_f32_u32_e32 v4, s24
	s_sub_i32 s26, 0, s24
	v_mov_b32_e32 v109, v5
	v_rcp_iflag_f32_e32 v4, v4
	v_mul_f32_e32 v4, 0x4f7ffffe, v4
	v_cvt_u32_f32_e32 v4, v4
	v_mul_lo_u32 v6, s26, v4
	v_mul_hi_u32 v6, v4, v6
	v_add_u32_e32 v4, v4, v6
	v_mul_hi_u32 v4, v7, v4
	v_mul_lo_u32 v6, v4, s24
	v_add_u32_e32 v9, 1, v4
	v_sub_u32_e32 v6, v7, v6
	v_subrev_u32_e32 v10, s24, v6
	v_cmp_le_u32_e32 vcc, s24, v6
	v_cndmask_b32_e32 v6, v6, v10, vcc
	v_cndmask_b32_e32 v4, v4, v9, vcc
	v_add_u32_e32 v9, 1, v4
	v_cmp_le_u32_e32 vcc, s24, v6
	v_cndmask_b32_e32 v108, v4, v9, vcc
.LBB0_6:                                ;   in Loop: Header=BB0_2 Depth=1
	s_or_b64 exec, exec, s[0:1]
	v_mul_lo_u32 v4, v109, s24
	v_mul_lo_u32 v6, v108, s25
	v_mad_u64_u32 v[9:10], s[0:1], v108, s24, 0
	s_load_dwordx2 s[0:1], s[6:7], 0x0
	s_load_dwordx2 s[24:25], s[2:3], 0x0
	v_add3_u32 v4, v10, v6, v4
	v_sub_co_u32_e32 v6, vcc, v7, v9
	v_subb_co_u32_e32 v4, vcc, v8, v4, vcc
	s_waitcnt lgkmcnt(0)
	v_mul_lo_u32 v7, s0, v4
	v_mul_lo_u32 v8, s1, v6
	v_mad_u64_u32 v[1:2], s[0:1], s0, v6, v[1:2]
	s_add_u32 s22, s22, 1
	s_addc_u32 s23, s23, 0
	s_add_u32 s2, s2, 8
	v_mul_lo_u32 v4, s24, v4
	v_mul_lo_u32 v9, s25, v6
	v_mad_u64_u32 v[104:105], s[0:1], s24, v6, v[104:105]
	v_add3_u32 v2, v8, v2, v7
	s_addc_u32 s3, s3, 0
	v_mov_b32_e32 v6, s14
	s_add_u32 s6, s6, 8
	v_mov_b32_e32 v7, s15
	s_addc_u32 s7, s7, 0
	v_cmp_ge_u64_e32 vcc, s[22:23], v[6:7]
	s_add_u32 s20, s20, 8
	v_add3_u32 v105, v9, v105, v4
	s_addc_u32 s21, s21, 0
	s_cbranch_vccnz .LBB0_8
; %bb.7:                                ;   in Loop: Header=BB0_2 Depth=1
	v_mov_b32_e32 v7, v108
	v_mov_b32_e32 v8, v109
	s_branch .LBB0_2
.LBB0_8:
	s_mov_b32 s0, 0xaaaaaaab
	s_load_dwordx2 s[4:5], s[4:5], 0x28
	v_mul_hi_u32 v4, v3, s0
	s_lshl_b64 s[6:7], s[14:15], 3
	s_add_u32 s2, s18, s6
	s_addc_u32 s3, s19, s7
	v_lshrrev_b32_e32 v4, 1, v4
	v_lshl_add_u32 v4, v4, 1, v4
	s_waitcnt lgkmcnt(0)
	v_cmp_gt_u64_e64 s[0:1], s[4:5], v[108:109]
	v_cmp_le_u64_e32 vcc, s[4:5], v[108:109]
	v_sub_u32_e32 v3, v3, v4
                                        ; implicit-def: $vgpr106
	s_and_saveexec_b64 s[4:5], vcc
	s_xor_b64 s[4:5], exec, s[4:5]
; %bb.9:
	s_mov_b32 s14, 0x3030304
	v_mul_hi_u32 v1, v0, s14
	v_mul_u32_u24_e32 v1, 0x55, v1
	v_sub_u32_e32 v106, v0, v1
                                        ; implicit-def: $vgpr0
                                        ; implicit-def: $vgpr1_vgpr2
; %bb.10:
	s_or_saveexec_b64 s[4:5], s[4:5]
	s_load_dwordx2 s[2:3], s[2:3], 0x0
	v_mul_u32_u24_e32 v3, 0x551, v3
	v_lshlrev_b32_e32 v240, 4, v3
	s_xor_b64 exec, exec, s[4:5]
	s_cbranch_execz .LBB0_14
; %bb.11:
	s_add_u32 s6, s16, s6
	s_addc_u32 s7, s17, s7
	s_load_dwordx2 s[6:7], s[6:7], 0x0
	s_mov_b32 s14, 0x3030304
	v_mul_hi_u32 v6, v0, s14
	v_lshlrev_b64 v[1:2], 4, v[1:2]
	s_waitcnt lgkmcnt(0)
	v_mul_lo_u32 v7, s7, v108
	v_mul_lo_u32 v8, s6, v109
	v_mad_u64_u32 v[4:5], s[6:7], s6, v108, 0
	v_mul_u32_u24_e32 v6, 0x55, v6
	v_sub_u32_e32 v106, v0, v6
	v_add3_u32 v5, v5, v8, v7
	v_lshlrev_b64 v[4:5], 4, v[4:5]
	v_mov_b32_e32 v0, s9
	v_add_co_u32_e32 v4, vcc, s8, v4
	v_addc_co_u32_e32 v0, vcc, v0, v5, vcc
	v_add_co_u32_e32 v1, vcc, v4, v1
	v_addc_co_u32_e32 v0, vcc, v0, v2, vcc
	v_lshlrev_b32_e32 v2, 4, v106
	v_add_co_u32_e32 v52, vcc, v1, v2
	v_addc_co_u32_e32 v53, vcc, 0, v0, vcc
	s_movk_i32 s6, 0x1000
	v_add_co_u32_e32 v36, vcc, s6, v52
	v_addc_co_u32_e32 v37, vcc, 0, v53, vcc
	s_movk_i32 s6, 0x2000
	;; [unrolled: 3-line block ×3, first 2 shown]
	v_add_co_u32_e32 v68, vcc, s6, v52
	v_addc_co_u32_e32 v69, vcc, 0, v53, vcc
	v_add_co_u32_e32 v70, vcc, 0x4000, v52
	global_load_dwordx4 v[4:7], v[52:53], off
	global_load_dwordx4 v[8:11], v[52:53], off offset:1360
	global_load_dwordx4 v[12:15], v[52:53], off offset:2720
	;; [unrolled: 1-line block ×7, first 2 shown]
	s_nop 0
	global_load_dwordx4 v[36:39], v[44:45], off offset:2688
	global_load_dwordx4 v[40:43], v[44:45], off offset:4048
	s_nop 0
	global_load_dwordx4 v[44:47], v[68:69], off offset:1312
	global_load_dwordx4 v[48:51], v[68:69], off offset:2672
	v_addc_co_u32_e32 v71, vcc, 0, v53, vcc
	global_load_dwordx4 v[52:55], v[68:69], off offset:4032
	global_load_dwordx4 v[56:59], v[70:71], off offset:1296
	;; [unrolled: 1-line block ×4, first 2 shown]
	s_movk_i32 s6, 0x54
	v_add3_u32 v2, 0, v240, v2
	v_cmp_eq_u32_e32 vcc, s6, v106
	s_waitcnt vmcnt(15)
	ds_write_b128 v2, v[4:7]
	s_waitcnt vmcnt(14)
	ds_write_b128 v2, v[8:11] offset:1360
	s_waitcnt vmcnt(13)
	ds_write_b128 v2, v[12:15] offset:2720
	;; [unrolled: 2-line block ×15, first 2 shown]
	s_and_saveexec_b64 s[6:7], vcc
	s_cbranch_execz .LBB0_13
; %bb.12:
	v_add_co_u32_e32 v4, vcc, 0x5000, v1
	v_addc_co_u32_e32 v5, vcc, 0, v0, vcc
	global_load_dwordx4 v[4:7], v[4:5], off offset:1280
	v_mov_b32_e32 v106, 0x54
	s_waitcnt vmcnt(0)
	ds_write_b128 v2, v[4:7] offset:20416
.LBB0_13:
	s_or_b64 exec, exec, s[6:7]
.LBB0_14:
	s_or_b64 exec, exec, s[4:5]
	v_lshl_add_u32 v238, v3, 4, 0
	v_lshlrev_b32_e32 v11, 4, v106
	v_add_u32_e32 v239, v238, v11
	s_waitcnt lgkmcnt(0)
	s_barrier
	v_sub_u32_e32 v10, v238, v11
	ds_read_b64 v[6:7], v239
	ds_read_b64 v[8:9], v10 offset:21760
	s_add_u32 s6, s12, 0x53f0
	s_addc_u32 s7, s13, 0
	v_cmp_ne_u32_e32 vcc, 0, v106
                                        ; implicit-def: $vgpr4_vgpr5
	s_waitcnt lgkmcnt(0)
	v_add_f64 v[0:1], v[6:7], v[8:9]
	v_add_f64 v[2:3], v[6:7], -v[8:9]
	s_and_saveexec_b64 s[4:5], vcc
	s_xor_b64 s[4:5], exec, s[4:5]
	s_cbranch_execz .LBB0_16
; %bb.15:
	v_mov_b32_e32 v107, 0
	v_lshlrev_b64 v[0:1], 4, v[106:107]
	v_mov_b32_e32 v2, s7
	v_add_co_u32_e32 v0, vcc, s6, v0
	v_addc_co_u32_e32 v1, vcc, v2, v1, vcc
	global_load_dwordx4 v[2:5], v[0:1], off
	ds_read_b64 v[0:1], v10 offset:21768
	ds_read_b64 v[12:13], v239 offset:8
	v_add_f64 v[14:15], v[6:7], v[8:9]
	v_add_f64 v[8:9], v[6:7], -v[8:9]
	s_waitcnt lgkmcnt(0)
	v_add_f64 v[16:17], v[0:1], v[12:13]
	v_add_f64 v[0:1], v[12:13], -v[0:1]
	s_waitcnt vmcnt(0)
	v_fma_f64 v[6:7], -v[8:9], v[4:5], v[14:15]
	v_fma_f64 v[12:13], v[16:17], v[4:5], -v[0:1]
	v_fma_f64 v[14:15], v[8:9], v[4:5], v[14:15]
	v_fma_f64 v[18:19], v[16:17], v[4:5], v[0:1]
	;; [unrolled: 1-line block ×4, first 2 shown]
	v_fma_f64 v[0:1], -v[16:17], v[2:3], v[14:15]
	v_fma_f64 v[2:3], v[8:9], v[2:3], v[18:19]
	ds_write_b128 v10, v[4:7] offset:21760
	v_mov_b32_e32 v4, v106
	v_mov_b32_e32 v5, v107
.LBB0_16:
	s_andn2_saveexec_b64 s[4:5], s[4:5]
	s_cbranch_execz .LBB0_18
; %bb.17:
	ds_read_b128 v[4:7], v238 offset:10880
	s_waitcnt lgkmcnt(0)
	v_add_f64 v[12:13], v[4:5], v[4:5]
	v_mul_f64 v[14:15], v[6:7], -2.0
	v_mov_b32_e32 v4, 0
	v_mov_b32_e32 v5, 0
	ds_write_b128 v238, v[12:15] offset:10880
.LBB0_18:
	s_or_b64 exec, exec, s[4:5]
	v_lshlrev_b64 v[4:5], 4, v[4:5]
	v_mov_b32_e32 v6, s7
	v_add_co_u32_e32 v24, vcc, s6, v4
	v_addc_co_u32_e32 v25, vcc, v6, v5, vcc
	global_load_dwordx4 v[4:7], v[24:25], off offset:1360
	global_load_dwordx4 v[12:15], v[24:25], off offset:2720
	ds_write_b128 v239, v[0:3]
	ds_read_b128 v[0:3], v239 offset:1360
	ds_read_b128 v[16:19], v10 offset:20400
	global_load_dwordx4 v[20:23], v[24:25], off offset:4080
	s_movk_i32 s4, 0x1000
	v_add3_u32 v107, 0, v11, v240
	s_mov_b32 s8, 0x5d8e7cdc
	s_waitcnt lgkmcnt(0)
	v_add_f64 v[8:9], v[0:1], v[16:17]
	v_add_f64 v[26:27], v[18:19], v[2:3]
	v_add_f64 v[16:17], v[0:1], -v[16:17]
	v_add_f64 v[0:1], v[2:3], -v[18:19]
	s_mov_b32 s6, 0x75d4884
	s_mov_b32 s14, 0x2a9d6da3
	;; [unrolled: 1-line block ×37, first 2 shown]
	s_movk_i32 s33, 0x50
	s_waitcnt vmcnt(2)
	v_fma_f64 v[2:3], v[16:17], v[6:7], v[8:9]
	v_fma_f64 v[18:19], v[26:27], v[6:7], v[0:1]
	v_fma_f64 v[8:9], -v[16:17], v[6:7], v[8:9]
	v_fma_f64 v[28:29], v[26:27], v[6:7], -v[0:1]
	v_fma_f64 v[0:1], -v[26:27], v[4:5], v[2:3]
	v_fma_f64 v[2:3], v[16:17], v[4:5], v[18:19]
	v_fma_f64 v[6:7], v[26:27], v[4:5], v[8:9]
	v_fma_f64 v[8:9], v[16:17], v[4:5], v[28:29]
	ds_write_b128 v239, v[0:3] offset:1360
	ds_write_b128 v10, v[6:9] offset:20400
	v_add_co_u32_e32 v8, vcc, s4, v24
	v_addc_co_u32_e32 v9, vcc, 0, v25, vcc
	ds_read_b128 v[0:3], v239 offset:2720
	ds_read_b128 v[4:7], v10 offset:19040
	global_load_dwordx4 v[16:19], v[8:9], off offset:1344
	s_movk_i32 s4, 0x2000
	s_waitcnt lgkmcnt(0)
	v_add_f64 v[26:27], v[0:1], v[4:5]
	v_add_f64 v[28:29], v[6:7], v[2:3]
	v_add_f64 v[30:31], v[0:1], -v[4:5]
	v_add_f64 v[0:1], v[2:3], -v[6:7]
	s_waitcnt vmcnt(2)
	v_fma_f64 v[2:3], v[30:31], v[14:15], v[26:27]
	v_fma_f64 v[4:5], v[28:29], v[14:15], v[0:1]
	v_fma_f64 v[6:7], -v[30:31], v[14:15], v[26:27]
	v_fma_f64 v[14:15], v[28:29], v[14:15], -v[0:1]
	v_fma_f64 v[0:1], -v[28:29], v[12:13], v[2:3]
	v_fma_f64 v[2:3], v[30:31], v[12:13], v[4:5]
	v_fma_f64 v[4:5], v[28:29], v[12:13], v[6:7]
	;; [unrolled: 1-line block ×3, first 2 shown]
	ds_write_b128 v239, v[0:3] offset:2720
	ds_write_b128 v10, v[4:7] offset:19040
	ds_read_b128 v[0:3], v239 offset:4080
	ds_read_b128 v[4:7], v10 offset:17680
	global_load_dwordx4 v[12:15], v[8:9], off offset:2704
	s_waitcnt lgkmcnt(0)
	v_add_f64 v[26:27], v[0:1], v[4:5]
	v_add_f64 v[28:29], v[6:7], v[2:3]
	v_add_f64 v[30:31], v[0:1], -v[4:5]
	v_add_f64 v[0:1], v[2:3], -v[6:7]
	s_waitcnt vmcnt(2)
	v_fma_f64 v[2:3], v[30:31], v[22:23], v[26:27]
	v_fma_f64 v[4:5], v[28:29], v[22:23], v[0:1]
	v_fma_f64 v[6:7], -v[30:31], v[22:23], v[26:27]
	v_fma_f64 v[22:23], v[28:29], v[22:23], -v[0:1]
	v_fma_f64 v[0:1], -v[28:29], v[20:21], v[2:3]
	v_fma_f64 v[2:3], v[30:31], v[20:21], v[4:5]
	v_fma_f64 v[4:5], v[28:29], v[20:21], v[6:7]
	;; [unrolled: 1-line block ×3, first 2 shown]
	ds_write_b128 v239, v[0:3] offset:4080
	ds_write_b128 v10, v[4:7] offset:17680
	ds_read_b128 v[0:3], v239 offset:5440
	ds_read_b128 v[4:7], v10 offset:16320
	global_load_dwordx4 v[20:23], v[8:9], off offset:4064
	s_waitcnt lgkmcnt(0)
	v_add_f64 v[8:9], v[0:1], v[4:5]
	v_add_f64 v[26:27], v[6:7], v[2:3]
	v_add_f64 v[28:29], v[0:1], -v[4:5]
	v_add_f64 v[0:1], v[2:3], -v[6:7]
	s_waitcnt vmcnt(2)
	v_fma_f64 v[2:3], v[28:29], v[18:19], v[8:9]
	v_fma_f64 v[4:5], v[26:27], v[18:19], v[0:1]
	v_fma_f64 v[6:7], -v[28:29], v[18:19], v[8:9]
	v_fma_f64 v[8:9], v[26:27], v[18:19], -v[0:1]
	v_fma_f64 v[0:1], -v[26:27], v[16:17], v[2:3]
	v_fma_f64 v[2:3], v[28:29], v[16:17], v[4:5]
	v_fma_f64 v[4:5], v[26:27], v[16:17], v[6:7]
	;; [unrolled: 1-line block ×3, first 2 shown]
	ds_write_b128 v239, v[0:3] offset:5440
	ds_write_b128 v10, v[4:7] offset:16320
	v_add_co_u32_e32 v0, vcc, s4, v24
	v_addc_co_u32_e32 v1, vcc, 0, v25, vcc
	ds_read_b128 v[4:7], v239 offset:6800
	ds_read_b128 v[16:19], v10 offset:14960
	global_load_dwordx4 v[0:3], v[0:1], off offset:1328
	s_mov_b32 s4, 0x370991
	s_mov_b32 s5, 0x3fedd6d0
	v_cmp_gt_u32_e32 vcc, s33, v106
	s_waitcnt lgkmcnt(0)
	v_add_f64 v[8:9], v[4:5], v[16:17]
	v_add_f64 v[24:25], v[18:19], v[6:7]
	v_add_f64 v[16:17], v[4:5], -v[16:17]
	v_add_f64 v[4:5], v[6:7], -v[18:19]
	s_waitcnt vmcnt(2)
	v_fma_f64 v[6:7], v[16:17], v[14:15], v[8:9]
	v_fma_f64 v[18:19], v[24:25], v[14:15], v[4:5]
	v_fma_f64 v[8:9], -v[16:17], v[14:15], v[8:9]
	v_fma_f64 v[26:27], v[24:25], v[14:15], -v[4:5]
	v_fma_f64 v[4:5], -v[24:25], v[12:13], v[6:7]
	v_fma_f64 v[6:7], v[16:17], v[12:13], v[18:19]
	v_fma_f64 v[14:15], v[24:25], v[12:13], v[8:9]
	;; [unrolled: 1-line block ×3, first 2 shown]
	ds_write_b128 v239, v[4:7] offset:6800
	ds_write_b128 v10, v[14:17] offset:14960
	ds_read_b128 v[4:7], v239 offset:8160
	ds_read_b128 v[12:15], v10 offset:13600
	s_waitcnt lgkmcnt(0)
	v_add_f64 v[8:9], v[4:5], v[12:13]
	v_add_f64 v[16:17], v[14:15], v[6:7]
	v_add_f64 v[18:19], v[4:5], -v[12:13]
	v_add_f64 v[4:5], v[6:7], -v[14:15]
	s_waitcnt vmcnt(1)
	v_fma_f64 v[6:7], v[18:19], v[22:23], v[8:9]
	v_fma_f64 v[11:12], v[16:17], v[22:23], v[4:5]
	v_fma_f64 v[8:9], -v[18:19], v[22:23], v[8:9]
	v_fma_f64 v[13:14], v[16:17], v[22:23], -v[4:5]
	v_fma_f64 v[4:5], -v[16:17], v[20:21], v[6:7]
	v_fma_f64 v[6:7], v[18:19], v[20:21], v[11:12]
	v_fma_f64 v[11:12], v[16:17], v[20:21], v[8:9]
	;; [unrolled: 1-line block ×3, first 2 shown]
	ds_write_b128 v239, v[4:7] offset:8160
	ds_write_b128 v10, v[11:14] offset:13600
	ds_read_b128 v[4:7], v239 offset:9520
	ds_read_b128 v[11:14], v10 offset:12240
	s_waitcnt lgkmcnt(0)
	v_add_f64 v[8:9], v[4:5], v[11:12]
	v_add_f64 v[15:16], v[13:14], v[6:7]
	v_add_f64 v[11:12], v[4:5], -v[11:12]
	v_add_f64 v[4:5], v[6:7], -v[13:14]
	s_waitcnt vmcnt(0)
	v_fma_f64 v[6:7], v[11:12], v[2:3], v[8:9]
	v_fma_f64 v[13:14], v[15:16], v[2:3], v[4:5]
	v_fma_f64 v[8:9], -v[11:12], v[2:3], v[8:9]
	v_fma_f64 v[17:18], v[15:16], v[2:3], -v[4:5]
	v_fma_f64 v[2:3], -v[15:16], v[0:1], v[6:7]
	v_fma_f64 v[4:5], v[11:12], v[0:1], v[13:14]
	v_fma_f64 v[6:7], v[15:16], v[0:1], v[8:9]
	;; [unrolled: 1-line block ×3, first 2 shown]
	ds_write_b128 v239, v[2:5] offset:9520
	ds_write_b128 v10, v[6:9] offset:12240
	s_waitcnt lgkmcnt(0)
	s_barrier
	s_barrier
	ds_read_b128 v[8:11], v107 offset:20480
	ds_read_b128 v[76:79], v107 offset:1280
	ds_read_b128 v[32:35], v239
	ds_read_b128 v[72:75], v107 offset:2560
	ds_read_b128 v[64:67], v107 offset:3840
	;; [unrolled: 1-line block ×14, first 2 shown]
	s_waitcnt lgkmcnt(14)
	v_add_f64 v[234:235], v[78:79], -v[10:11]
	v_add_f64 v[222:223], v[78:79], v[10:11]
	v_add_f64 v[194:195], v[76:77], v[8:9]
	s_waitcnt lgkmcnt(11)
	v_add_f64 v[230:231], v[74:75], -v[14:15]
	v_add_f64 v[204:205], v[76:77], -v[8:9]
	v_add_f64 v[220:221], v[74:75], v[14:15]
	v_add_f64 v[190:191], v[72:73], v[12:13]
	v_add_f64 v[200:201], v[72:73], -v[12:13]
	v_mul_f64 v[144:145], v[234:235], s[8:9]
	v_mul_f64 v[154:155], v[222:223], s[4:5]
	v_mul_f64 v[162:163], v[234:235], s[14:15]
	v_mul_f64 v[218:219], v[222:223], s[6:7]
	s_waitcnt lgkmcnt(10)
	v_add_f64 v[232:233], v[66:67], -v[18:19]
	v_add_f64 v[216:217], v[66:67], v[18:19]
	v_mul_f64 v[140:141], v[230:231], s[14:15]
	v_mul_f64 v[146:147], v[220:221], s[6:7]
	;; [unrolled: 1-line block ×4, first 2 shown]
	v_fma_f64 v[0:1], v[194:195], s[4:5], -v[144:145]
	v_fma_f64 v[2:3], v[204:205], s[8:9], v[154:155]
	v_fma_f64 v[4:5], v[194:195], s[6:7], -v[162:163]
	v_fma_f64 v[6:7], v[204:205], s[14:15], v[218:219]
	v_add_f64 v[184:185], v[64:65], v[16:17]
	v_add_f64 v[196:197], v[64:65], -v[16:17]
	s_waitcnt lgkmcnt(7)
	v_add_f64 v[236:237], v[62:63], -v[22:23]
	v_add_f64 v[212:213], v[62:63], v[22:23]
	v_mul_f64 v[134:135], v[232:233], s[20:21]
	v_mul_f64 v[138:139], v[216:217], s[18:19]
	v_mul_f64 v[158:159], v[232:233], s[34:35]
	v_mul_f64 v[210:211], v[216:217], s[30:31]
	v_fma_f64 v[68:69], v[190:191], s[6:7], -v[140:141]
	v_fma_f64 v[70:71], v[200:201], s[14:15], v[146:147]
	v_fma_f64 v[80:81], v[190:191], s[16:17], -v[164:165]
	v_fma_f64 v[82:83], v[200:201], s[22:23], v[214:215]
	v_add_f64 v[0:1], v[32:33], v[0:1]
	v_add_f64 v[2:3], v[34:35], v[2:3]
	v_add_f64 v[4:5], v[32:33], v[4:5]
	v_add_f64 v[6:7], v[34:35], v[6:7]
	v_add_f64 v[174:175], v[60:61], v[20:21]
	v_add_f64 v[192:193], v[60:61], -v[20:21]
	s_waitcnt lgkmcnt(6)
	v_add_f64 v[228:229], v[58:59], -v[26:27]
	v_add_f64 v[206:207], v[58:59], v[26:27]
	v_mul_f64 v[128:129], v[236:237], s[22:23]
	v_mul_f64 v[132:133], v[212:213], s[16:17]
	v_mul_f64 v[150:151], v[236:237], s[50:51]
	v_mul_f64 v[202:203], v[212:213], s[40:41]
	v_fma_f64 v[84:85], v[184:185], s[18:19], -v[134:135]
	v_fma_f64 v[86:87], v[196:197], s[20:21], v[138:139]
	v_fma_f64 v[88:89], v[184:185], s[30:31], -v[158:159]
	v_fma_f64 v[90:91], v[196:197], s[34:35], v[210:211]
	v_add_f64 v[0:1], v[68:69], v[0:1]
	v_add_f64 v[2:3], v[70:71], v[2:3]
	v_add_f64 v[4:5], v[80:81], v[4:5]
	v_add_f64 v[6:7], v[82:83], v[6:7]
	;; [unrolled: 17-line block ×5, first 2 shown]
	v_add_f64 v[156:157], v[44:45], v[40:41]
	v_add_f64 v[168:169], v[44:45], -v[40:41]
	v_mul_f64 v[92:93], v[172:173], s[50:51]
	v_mul_f64 v[94:95], v[160:161], s[40:41]
	;; [unrolled: 1-line block ×4, first 2 shown]
	v_fma_f64 v[84:85], v[148:149], s[28:29], -v[96:97]
	v_fma_f64 v[86:87], v[176:177], s[36:37], v[98:99]
	v_fma_f64 v[88:89], v[148:149], s[18:19], -v[130:131]
	v_fma_f64 v[90:91], v[176:177], s[48:49], v[182:183]
	v_add_f64 v[0:1], v[68:69], v[0:1]
	v_add_f64 v[2:3], v[70:71], v[2:3]
	;; [unrolled: 1-line block ×4, first 2 shown]
	v_fma_f64 v[68:69], v[156:157], s[40:41], -v[92:93]
	v_fma_f64 v[70:71], v[168:169], s[50:51], v[94:95]
	v_fma_f64 v[80:81], v[156:157], s[4:5], -v[112:113]
	v_fma_f64 v[82:83], v[168:169], s[44:45], v[180:181]
	v_add_f64 v[0:1], v[84:85], v[0:1]
	v_add_f64 v[2:3], v[86:87], v[2:3]
	;; [unrolled: 1-line block ×4, first 2 shown]
	s_barrier
	v_add_f64 v[4:5], v[68:69], v[0:1]
	v_add_f64 v[6:7], v[70:71], v[2:3]
	;; [unrolled: 1-line block ×4, first 2 shown]
	s_and_saveexec_b64 s[42:43], vcc
	s_cbranch_execz .LBB0_20
; %bb.19:
	v_mul_f64 v[68:69], v[204:205], s[50:51]
	v_mul_f64 v[70:71], v[234:235], s[50:51]
	buffer_store_dword v92, off, s[60:63], 0 ; 4-byte Folded Spill
	s_nop 0
	buffer_store_dword v93, off, s[60:63], 0 offset:4 ; 4-byte Folded Spill
	v_mul_f64 v[84:85], v[200:201], s[44:45]
	v_mul_f64 v[90:91], v[230:231], s[44:45]
	buffer_store_dword v94, off, s[60:63], 0 offset:8 ; 4-byte Folded Spill
	s_nop 0
	buffer_store_dword v95, off, s[60:63], 0 offset:12 ; 4-byte Folded Spill
	buffer_store_dword v96, off, s[60:63], 0 offset:16 ; 4-byte Folded Spill
	s_nop 0
	buffer_store_dword v97, off, s[60:63], 0 offset:20 ; 4-byte Folded Spill
	;; [unrolled: 3-line block ×3, first 2 shown]
	v_fma_f64 v[88:89], v[222:223], s[40:41], v[68:69]
	v_fma_f64 v[92:93], v[194:195], s[40:41], -v[70:71]
	buffer_store_dword v100, off, s[60:63], 0 offset:32 ; 4-byte Folded Spill
	s_nop 0
	buffer_store_dword v101, off, s[60:63], 0 offset:36 ; 4-byte Folded Spill
	v_mul_f64 v[94:95], v[196:197], s[36:37]
	v_fma_f64 v[98:99], v[220:221], s[4:5], v[84:85]
	v_mul_f64 v[100:101], v[232:233], s[36:37]
	v_fma_f64 v[241:242], v[190:191], s[4:5], -v[90:91]
	s_mov_b32 s53, 0x3fe58eea
	v_add_f64 v[88:89], v[34:35], v[88:89]
	v_add_f64 v[92:93], v[32:33], v[92:93]
	s_mov_b32 s52, s14
	v_mul_f64 v[245:246], v[192:193], s[52:53]
	v_fma_f64 v[247:248], v[216:217], s[28:29], v[94:95]
	v_fma_f64 v[68:69], v[222:223], s[40:41], -v[68:69]
	v_fma_f64 v[249:250], v[184:185], s[28:29], -v[100:101]
	v_fma_f64 v[70:71], v[194:195], s[40:41], v[70:71]
	v_add_f64 v[88:89], v[98:99], v[88:89]
	v_mul_f64 v[98:99], v[236:237], s[52:53]
	v_add_f64 v[92:93], v[241:242], v[92:93]
	v_mul_f64 v[86:87], v[186:187], s[34:35]
	v_mul_f64 v[243:244], v[228:229], s[34:35]
	v_fma_f64 v[84:85], v[220:221], s[4:5], -v[84:85]
	v_fma_f64 v[241:242], v[212:213], s[6:7], v[245:246]
	v_add_f64 v[68:69], v[34:35], v[68:69]
	v_add_f64 v[88:89], v[247:248], v[88:89]
	v_fma_f64 v[251:252], v[174:175], s[6:7], -v[98:99]
	v_add_f64 v[92:93], v[249:250], v[92:93]
	v_fma_f64 v[90:91], v[190:191], s[4:5], v[90:91]
	v_add_f64 v[70:71], v[32:33], v[70:71]
	buffer_store_dword v102, off, s[60:63], 0 offset:40 ; 4-byte Folded Spill
	s_nop 0
	buffer_store_dword v103, off, s[60:63], 0 offset:44 ; 4-byte Folded Spill
	v_mul_f64 v[82:83], v[178:179], s[48:49]
	v_mul_f64 v[102:103], v[226:227], s[48:49]
	v_fma_f64 v[249:250], v[206:207], s[30:31], v[86:87]
	v_add_f64 v[88:89], v[241:242], v[88:89]
	v_add_f64 v[68:69], v[84:85], v[68:69]
	v_fma_f64 v[94:95], v[216:217], s[28:29], -v[94:95]
	v_add_f64 v[92:93], v[251:252], v[92:93]
	v_fma_f64 v[241:242], v[166:167], s[30:31], -v[243:244]
	v_add_f64 v[70:71], v[90:91], v[70:71]
	v_fma_f64 v[100:101], v[184:185], s[28:29], v[100:101]
	v_mul_f64 v[80:81], v[176:177], s[26:27]
	v_mul_f64 v[96:97], v[224:225], s[26:27]
	v_fma_f64 v[90:91], v[208:209], s[18:19], v[82:83]
	v_add_f64 v[88:89], v[249:250], v[88:89]
	v_fma_f64 v[245:246], v[212:213], s[6:7], -v[245:246]
	v_add_f64 v[68:69], v[94:95], v[68:69]
	v_fma_f64 v[94:95], v[152:153], s[18:19], -v[102:103]
	v_add_f64 v[92:93], v[241:242], v[92:93]
	v_fma_f64 v[98:99], v[174:175], s[6:7], v[98:99]
	v_add_f64 v[70:71], v[100:101], v[70:71]
	s_mov_b32 s57, 0x3fefdd0d
	s_mov_b32 s56, s22
	v_mul_f64 v[247:248], v[168:169], s[56:57]
	v_mul_f64 v[84:85], v[172:173], s[56:57]
	v_fma_f64 v[241:242], v[170:171], s[24:25], v[80:81]
	v_add_f64 v[88:89], v[90:91], v[88:89]
	v_fma_f64 v[86:87], v[206:207], s[30:31], -v[86:87]
	v_add_f64 v[68:69], v[245:246], v[68:69]
	v_fma_f64 v[90:91], v[148:149], s[24:25], -v[96:97]
	v_add_f64 v[92:93], v[94:95], v[92:93]
	v_add_f64 v[70:71], v[98:99], v[70:71]
	v_mul_f64 v[98:99], v[204:205], s[36:37]
	v_fma_f64 v[94:95], v[166:167], s[30:31], v[243:244]
	v_fma_f64 v[100:101], v[160:161], s[16:17], v[247:248]
	v_add_f64 v[88:89], v[241:242], v[88:89]
	v_fma_f64 v[82:83], v[208:209], s[18:19], -v[82:83]
	v_add_f64 v[68:69], v[86:87], v[68:69]
	v_fma_f64 v[86:87], v[156:157], s[16:17], -v[84:85]
	v_add_f64 v[90:91], v[90:91], v[92:93]
	v_fma_f64 v[92:93], v[152:153], s[18:19], v[102:103]
	v_mul_f64 v[102:103], v[200:201], s[48:49]
	v_fma_f64 v[241:242], v[222:223], s[28:29], v[98:99]
	v_add_f64 v[94:95], v[94:95], v[70:71]
	v_add_f64 v[70:71], v[100:101], v[88:89]
	v_mul_f64 v[88:89], v[234:235], s[36:37]
	v_add_f64 v[82:83], v[82:83], v[68:69]
	v_add_f64 v[68:69], v[86:87], v[90:91]
	v_mul_f64 v[86:87], v[196:197], s[22:23]
	v_fma_f64 v[90:91], v[220:221], s[18:19], v[102:103]
	v_add_f64 v[100:101], v[34:35], v[241:242]
	s_mov_b32 s55, 0x3fe9895b
	s_mov_b32 s54, s34
	v_fma_f64 v[80:81], v[170:171], s[24:25], -v[80:81]
	v_mul_f64 v[241:242], v[230:231], s[48:49]
	v_fma_f64 v[243:244], v[194:195], s[28:29], -v[88:89]
	v_mul_f64 v[245:246], v[192:193], s[54:55]
	v_fma_f64 v[249:250], v[216:217], s[16:17], v[86:87]
	v_add_f64 v[90:91], v[90:91], v[100:101]
	v_fma_f64 v[96:97], v[148:149], s[24:25], v[96:97]
	v_add_f64 v[92:93], v[92:93], v[94:95]
	v_fma_f64 v[94:95], v[160:161], s[16:17], -v[247:248]
	v_mul_f64 v[100:101], v[232:233], s[22:23]
	v_fma_f64 v[247:248], v[190:191], s[18:19], -v[241:242]
	v_add_f64 v[243:244], v[32:33], v[243:244]
	v_mul_f64 v[251:252], v[186:187], s[8:9]
	v_fma_f64 v[253:254], v[212:213], s[30:31], v[245:246]
	v_add_f64 v[90:91], v[249:250], v[90:91]
	v_add_f64 v[80:81], v[80:81], v[82:83]
	buffer_store_dword v68, off, s[60:63], 0 offset:48 ; 4-byte Folded Spill
	s_nop 0
	buffer_store_dword v69, off, s[60:63], 0 offset:52 ; 4-byte Folded Spill
	buffer_store_dword v70, off, s[60:63], 0 offset:56 ; 4-byte Folded Spill
	;; [unrolled: 1-line block ×4, first 2 shown]
	s_nop 0
	buffer_store_dword v111, off, s[60:63], 0 offset:68 ; 4-byte Folded Spill
	v_fma_f64 v[84:85], v[156:157], s[16:17], v[84:85]
	v_mul_f64 v[249:250], v[236:237], s[54:55]
	v_fma_f64 v[110:111], v[184:185], s[16:17], -v[100:101]
	v_add_f64 v[243:244], v[247:248], v[243:244]
	v_add_f64 v[92:93], v[96:97], v[92:93]
	v_fma_f64 v[96:97], v[206:207], s[4:5], v[251:252]
	v_add_f64 v[90:91], v[253:254], v[90:91]
	v_add_f64 v[82:83], v[94:95], v[80:81]
	v_mul_f64 v[94:95], v[178:179], s[50:51]
	v_fma_f64 v[98:99], v[222:223], s[28:29], -v[98:99]
	v_fma_f64 v[247:248], v[174:175], s[30:31], -v[249:250]
	v_add_f64 v[110:111], v[110:111], v[243:244]
	v_mul_f64 v[243:244], v[228:229], s[8:9]
	v_add_f64 v[80:81], v[84:85], v[92:93]
	v_add_f64 v[84:85], v[96:97], v[90:91]
	v_fma_f64 v[90:91], v[220:221], s[18:19], -v[102:103]
	v_fma_f64 v[88:89], v[194:195], s[28:29], v[88:89]
	v_add_f64 v[92:93], v[34:35], v[98:99]
	v_fma_f64 v[96:97], v[208:209], s[40:41], v[94:95]
	v_add_f64 v[98:99], v[247:248], v[110:111]
	v_fma_f64 v[102:103], v[166:167], s[4:5], -v[243:244]
	v_mul_f64 v[110:111], v[176:177], s[52:53]
	v_mul_f64 v[247:248], v[226:227], s[50:51]
	v_fma_f64 v[241:242], v[190:191], s[18:19], v[241:242]
	v_add_f64 v[88:89], v[32:33], v[88:89]
	v_add_f64 v[90:91], v[90:91], v[92:93]
	v_fma_f64 v[86:87], v[216:217], s[16:17], -v[86:87]
	v_add_f64 v[84:85], v[96:97], v[84:85]
	v_mul_f64 v[96:97], v[204:205], s[34:35]
	v_add_f64 v[92:93], v[102:103], v[98:99]
	v_fma_f64 v[98:99], v[170:171], s[6:7], v[110:111]
	v_fma_f64 v[102:103], v[152:153], s[40:41], -v[247:248]
	v_add_f64 v[88:89], v[241:242], v[88:89]
	v_fma_f64 v[100:101], v[184:185], s[16:17], v[100:101]
	v_add_f64 v[86:87], v[86:87], v[90:91]
	v_fma_f64 v[90:91], v[212:213], s[30:31], -v[245:246]
	v_fma_f64 v[241:242], v[222:223], s[30:31], v[96:97]
	v_mul_f64 v[245:246], v[200:201], s[46:47]
	v_add_f64 v[84:85], v[98:99], v[84:85]
	v_add_f64 v[92:93], v[102:103], v[92:93]
	v_mul_f64 v[98:99], v[224:225], s[52:53]
	v_add_f64 v[88:89], v[100:101], v[88:89]
	v_fma_f64 v[100:101], v[174:175], s[30:31], v[249:250]
	v_add_f64 v[86:87], v[90:91], v[86:87]
	v_add_f64 v[90:91], v[34:35], v[241:242]
	v_fma_f64 v[102:103], v[220:221], s[24:25], v[245:246]
	v_mul_f64 v[241:242], v[196:197], s[8:9]
	v_fma_f64 v[249:250], v[206:207], s[4:5], -v[251:252]
	v_fma_f64 v[251:252], v[148:149], s[6:7], -v[98:99]
	v_mul_f64 v[253:254], v[168:169], s[26:27]
	v_add_f64 v[88:89], v[100:101], v[88:89]
	v_mul_f64 v[100:101], v[172:173], s[26:27]
	v_fma_f64 v[243:244], v[166:167], s[4:5], v[243:244]
	v_add_f64 v[90:91], v[102:103], v[90:91]
	v_fma_f64 v[102:103], v[216:217], s[4:5], v[241:242]
	v_add_f64 v[86:87], v[249:250], v[86:87]
	v_mul_f64 v[249:250], v[192:193], s[36:37]
	buffer_store_dword v112, off, s[60:63], 0 offset:72 ; 4-byte Folded Spill
	s_nop 0
	buffer_store_dword v113, off, s[60:63], 0 offset:76 ; 4-byte Folded Spill
	v_fma_f64 v[94:95], v[208:209], s[40:41], -v[94:95]
	v_add_f64 v[92:93], v[251:252], v[92:93]
	v_fma_f64 v[251:252], v[160:161], s[24:25], v[253:254]
	v_add_f64 v[88:89], v[243:244], v[88:89]
	v_fma_f64 v[243:244], v[156:157], s[24:25], -v[100:101]
	v_add_f64 v[90:91], v[102:103], v[90:91]
	v_fma_f64 v[102:103], v[152:153], s[40:41], v[247:248]
	v_fma_f64 v[247:248], v[212:213], s[28:29], v[249:250]
	v_mul_f64 v[112:113], v[186:187], s[56:57]
	v_add_f64 v[94:95], v[94:95], v[86:87]
	v_add_f64 v[86:87], v[251:252], v[84:85]
	v_fma_f64 v[110:111], v[170:171], s[6:7], -v[110:111]
	v_add_f64 v[84:85], v[243:244], v[92:93]
	v_fma_f64 v[92:93], v[148:149], s[6:7], v[98:99]
	v_add_f64 v[88:89], v[102:103], v[88:89]
	v_add_f64 v[90:91], v[247:248], v[90:91]
	v_fma_f64 v[98:99], v[206:207], s[16:17], v[112:113]
	v_mul_f64 v[102:103], v[178:179], s[14:15]
	v_mul_f64 v[243:244], v[234:235], s[34:35]
	v_add_f64 v[94:95], v[110:111], v[94:95]
	v_fma_f64 v[110:111], v[160:161], s[24:25], -v[253:254]
	v_fma_f64 v[100:101], v[156:157], s[24:25], v[100:101]
	v_add_f64 v[88:89], v[92:93], v[88:89]
	v_mul_f64 v[247:248], v[176:177], s[50:51]
	v_add_f64 v[92:93], v[98:99], v[90:91]
	v_fma_f64 v[98:99], v[208:209], s[6:7], v[102:103]
	v_fma_f64 v[251:252], v[194:195], s[30:31], -v[243:244]
	v_mul_f64 v[253:254], v[230:231], s[46:47]
	v_add_f64 v[90:91], v[110:111], v[94:95]
	v_mul_f64 v[110:111], v[232:233], s[8:9]
	v_add_f64 v[88:89], v[100:101], v[88:89]
	v_fma_f64 v[94:95], v[170:171], s[40:41], v[247:248]
	v_mul_f64 v[70:71], v[224:225], s[50:51]
	v_add_f64 v[92:93], v[98:99], v[92:93]
	v_add_f64 v[98:99], v[32:33], v[251:252]
	v_fma_f64 v[100:101], v[190:191], s[24:25], -v[253:254]
	v_mul_f64 v[114:115], v[168:169], s[48:49]
	v_mul_f64 v[116:117], v[172:173], s[48:49]
	v_fma_f64 v[112:113], v[206:207], s[16:17], -v[112:113]
	v_fma_f64 v[102:103], v[208:209], s[6:7], -v[102:103]
	v_add_f64 v[78:79], v[34:35], v[78:79]
	v_add_f64 v[92:93], v[94:95], v[92:93]
	;; [unrolled: 1-line block ×4, first 2 shown]
	v_fma_f64 v[98:99], v[184:185], s[4:5], -v[110:111]
	v_mul_f64 v[100:101], v[236:237], s[36:37]
	v_fma_f64 v[110:111], v[184:185], s[4:5], v[110:111]
	v_add_f64 v[74:75], v[78:79], v[74:75]
	v_mul_f64 v[78:79], v[186:187], s[20:21]
	v_add_f64 v[72:73], v[76:77], v[72:73]
	v_add_f64 v[94:95], v[98:99], v[94:95]
	v_fma_f64 v[98:99], v[174:175], s[28:29], -v[100:101]
	v_fma_f64 v[100:101], v[174:175], s[28:29], v[100:101]
	v_add_f64 v[74:75], v[74:75], v[66:67]
	v_add_f64 v[72:73], v[72:73], v[64:65]
	;; [unrolled: 1-line block ×3, first 2 shown]
	v_mul_f64 v[98:99], v[228:229], s[56:57]
	v_add_f64 v[72:73], v[72:73], v[60:61]
	v_fma_f64 v[251:252], v[166:167], s[16:17], -v[98:99]
	v_fma_f64 v[98:99], v[166:167], s[16:17], v[98:99]
	v_add_f64 v[56:57], v[72:73], v[56:57]
	v_add_f64 v[94:95], v[251:252], v[94:95]
	v_mul_f64 v[251:252], v[226:227], s[14:15]
	v_add_f64 v[52:53], v[56:57], v[52:53]
	v_fma_f64 v[68:69], v[152:153], s[6:7], -v[251:252]
	v_add_f64 v[48:49], v[52:53], v[48:49]
	v_add_f64 v[68:69], v[68:69], v[94:95]
	v_fma_f64 v[94:95], v[148:149], s[40:41], -v[70:71]
	v_fma_f64 v[70:71], v[148:149], s[40:41], v[70:71]
	v_add_f64 v[44:45], v[48:49], v[44:45]
	v_add_f64 v[68:69], v[94:95], v[68:69]
	v_fma_f64 v[94:95], v[160:161], s[18:19], v[114:115]
	v_fma_f64 v[114:115], v[160:161], s[18:19], -v[114:115]
	v_add_f64 v[40:41], v[44:45], v[40:41]
	v_add_f64 v[94:95], v[94:95], v[92:93]
	v_fma_f64 v[92:93], v[156:157], s[18:19], -v[116:117]
	v_fma_f64 v[116:117], v[156:157], s[18:19], v[116:117]
	v_add_f64 v[36:37], v[40:41], v[36:37]
	v_add_f64 v[92:93], v[92:93], v[68:69]
	v_fma_f64 v[68:69], v[222:223], s[30:31], -v[96:97]
	v_fma_f64 v[96:97], v[220:221], s[24:25], -v[245:246]
	v_add_f64 v[28:29], v[36:37], v[28:29]
	v_add_f64 v[68:69], v[34:35], v[68:69]
	;; [unrolled: 1-line block ×4, first 2 shown]
	v_fma_f64 v[96:97], v[216:217], s[4:5], -v[241:242]
	v_fma_f64 v[241:242], v[190:191], s[24:25], v[253:254]
	v_add_f64 v[20:21], v[24:25], v[20:21]
	v_add_f64 v[68:69], v[96:97], v[68:69]
	v_fma_f64 v[96:97], v[212:213], s[28:29], -v[249:250]
	v_add_f64 v[16:17], v[20:21], v[16:17]
	v_add_f64 v[68:69], v[96:97], v[68:69]
	v_fma_f64 v[96:97], v[194:195], s[30:31], v[243:244]
	v_fma_f64 v[243:244], v[170:171], s[40:41], -v[247:248]
	v_mul_f64 v[247:248], v[178:179], s[56:57]
	v_add_f64 v[68:69], v[112:113], v[68:69]
	v_add_f64 v[96:97], v[32:33], v[96:97]
	;; [unrolled: 1-line block ×4, first 2 shown]
	v_fma_f64 v[241:242], v[152:153], s[6:7], v[251:252]
	v_mul_f64 v[102:103], v[196:197], s[52:53]
	v_add_f64 v[68:69], v[243:244], v[68:69]
	v_add_f64 v[96:97], v[110:111], v[96:97]
	v_mul_f64 v[110:111], v[204:205], s[26:27]
	v_add_f64 v[96:97], v[100:101], v[96:97]
	v_mul_f64 v[100:101], v[200:201], s[38:39]
	v_fma_f64 v[112:113], v[222:223], s[24:25], v[110:111]
	v_fma_f64 v[110:111], v[222:223], s[24:25], -v[110:111]
	v_add_f64 v[96:97], v[98:99], v[96:97]
	v_fma_f64 v[98:99], v[220:221], s[28:29], v[100:101]
	v_add_f64 v[112:113], v[34:35], v[112:113]
	v_fma_f64 v[100:101], v[220:221], s[28:29], -v[100:101]
	v_add_f64 v[110:111], v[34:35], v[110:111]
	v_add_f64 v[96:97], v[241:242], v[96:97]
	v_fma_f64 v[241:242], v[216:217], s[6:7], v[102:103]
	v_add_f64 v[98:99], v[98:99], v[112:113]
	v_mul_f64 v[112:113], v[192:193], s[20:21]
	v_add_f64 v[100:101], v[100:101], v[110:111]
	v_fma_f64 v[102:103], v[216:217], s[6:7], -v[102:103]
	v_add_f64 v[70:71], v[70:71], v[96:97]
	v_add_f64 v[98:99], v[241:242], v[98:99]
	v_fma_f64 v[243:244], v[212:213], s[18:19], v[112:113]
	v_mul_f64 v[241:242], v[186:187], s[50:51]
	v_add_f64 v[100:101], v[102:103], v[100:101]
	v_fma_f64 v[102:103], v[212:213], s[18:19], -v[112:113]
	v_add_f64 v[96:97], v[116:117], v[70:71]
	v_fma_f64 v[70:71], v[208:209], s[16:17], v[247:248]
	v_mul_f64 v[116:117], v[234:235], s[26:27]
	v_add_f64 v[243:244], v[243:244], v[98:99]
	v_fma_f64 v[245:246], v[206:207], s[40:41], v[241:242]
	v_add_f64 v[98:99], v[114:115], v[68:69]
	v_mul_f64 v[114:115], v[176:177], s[8:9]
	v_add_f64 v[100:101], v[102:103], v[100:101]
	v_fma_f64 v[102:103], v[194:195], s[24:25], v[116:117]
	v_add_f64 v[68:69], v[245:246], v[243:244]
	v_mul_f64 v[243:244], v[230:231], s[38:39]
	v_add_f64 v[102:103], v[32:33], v[102:103]
	v_add_f64 v[68:69], v[70:71], v[68:69]
	v_fma_f64 v[70:71], v[170:171], s[4:5], v[114:115]
	v_fma_f64 v[245:246], v[190:191], s[28:29], -v[243:244]
	v_fma_f64 v[110:111], v[190:191], s[28:29], v[243:244]
	v_fma_f64 v[114:115], v[170:171], s[4:5], -v[114:115]
	v_add_f64 v[68:69], v[70:71], v[68:69]
	v_fma_f64 v[70:71], v[194:195], s[24:25], -v[116:117]
	v_add_f64 v[102:103], v[110:111], v[102:103]
	v_fma_f64 v[116:117], v[208:209], s[16:17], -v[247:248]
	v_add_f64 v[70:71], v[32:33], v[70:71]
	v_add_f64 v[70:71], v[245:246], v[70:71]
	v_mul_f64 v[245:246], v[232:233], s[52:53]
	v_fma_f64 v[249:250], v[184:185], s[6:7], -v[245:246]
	v_fma_f64 v[110:111], v[184:185], s[6:7], v[245:246]
	v_mul_f64 v[245:246], v[230:231], s[50:51]
	v_add_f64 v[70:71], v[249:250], v[70:71]
	v_mul_f64 v[249:250], v[236:237], s[20:21]
	v_add_f64 v[102:103], v[110:111], v[102:103]
	v_fma_f64 v[247:248], v[190:191], s[40:41], -v[245:246]
	v_fma_f64 v[251:252], v[174:175], s[18:19], -v[249:250]
	v_fma_f64 v[110:111], v[174:175], s[18:19], v[249:250]
	v_add_f64 v[70:71], v[251:252], v[70:71]
	v_mul_f64 v[251:252], v[228:229], s[50:51]
	v_add_f64 v[102:103], v[110:111], v[102:103]
	v_fma_f64 v[110:111], v[206:207], s[40:41], -v[241:242]
	v_fma_f64 v[253:254], v[166:167], s[40:41], -v[251:252]
	v_fma_f64 v[112:113], v[166:167], s[40:41], v[251:252]
	v_add_f64 v[100:101], v[110:111], v[100:101]
	v_mul_f64 v[110:111], v[168:169], s[34:35]
	v_add_f64 v[70:71], v[253:254], v[70:71]
	v_mul_f64 v[253:254], v[226:227], s[56:57]
	v_add_f64 v[102:103], v[112:113], v[102:103]
	v_add_f64 v[116:117], v[116:117], v[100:101]
	v_fma_f64 v[100:101], v[160:161], s[30:31], v[110:111]
	v_fma_f64 v[110:111], v[160:161], s[30:31], -v[110:111]
	v_fma_f64 v[118:119], v[152:153], s[16:17], -v[253:254]
	v_fma_f64 v[112:113], v[152:153], s[16:17], v[253:254]
	v_add_f64 v[114:115], v[114:115], v[116:117]
	v_add_f64 v[70:71], v[118:119], v[70:71]
	v_mul_f64 v[118:119], v[224:225], s[8:9]
	v_add_f64 v[112:113], v[112:113], v[102:103]
	v_add_f64 v[102:103], v[100:101], v[68:69]
	;; [unrolled: 1-line block ×3, first 2 shown]
	v_mul_f64 v[114:115], v[196:197], s[46:47]
	v_fma_f64 v[120:121], v[148:149], s[4:5], -v[118:119]
	v_fma_f64 v[68:69], v[148:149], s[4:5], v[118:119]
	v_add_f64 v[70:71], v[120:121], v[70:71]
	v_mul_f64 v[120:121], v[172:173], s[34:35]
	v_add_f64 v[68:69], v[68:69], v[112:113]
	v_mul_f64 v[112:113], v[200:201], s[50:51]
	v_fma_f64 v[241:242], v[156:157], s[30:31], -v[120:121]
	v_fma_f64 v[116:117], v[156:157], s[30:31], v[120:121]
	v_add_f64 v[100:101], v[241:242], v[70:71]
	v_mul_f64 v[70:71], v[204:205], s[22:23]
	v_add_f64 v[241:242], v[116:117], v[68:69]
	v_fma_f64 v[68:69], v[220:221], s[40:41], v[112:113]
	v_mul_f64 v[116:117], v[192:193], s[44:45]
	v_fma_f64 v[112:113], v[220:221], s[40:41], -v[112:113]
	v_fma_f64 v[118:119], v[222:223], s[16:17], v[70:71]
	v_fma_f64 v[70:71], v[222:223], s[16:17], -v[70:71]
	v_fma_f64 v[76:77], v[212:213], s[4:5], v[116:117]
	v_add_f64 v[110:111], v[34:35], v[118:119]
	v_add_f64 v[70:71], v[34:35], v[70:71]
	;; [unrolled: 1-line block ×3, first 2 shown]
	v_fma_f64 v[110:111], v[216:217], s[24:25], v[114:115]
	v_add_f64 v[70:71], v[112:113], v[70:71]
	v_fma_f64 v[112:113], v[216:217], s[24:25], -v[114:115]
	v_add_f64 v[68:69], v[110:111], v[68:69]
	v_mul_f64 v[110:111], v[178:179], s[36:37]
	v_add_f64 v[70:71], v[112:113], v[70:71]
	v_fma_f64 v[112:113], v[212:213], s[4:5], -v[116:117]
	v_add_f64 v[68:69], v[76:77], v[68:69]
	v_fma_f64 v[76:77], v[206:207], s[18:19], v[78:79]
	v_fma_f64 v[78:79], v[206:207], s[18:19], -v[78:79]
	v_add_f64 v[70:71], v[112:113], v[70:71]
	v_fma_f64 v[112:113], v[190:191], s[40:41], v[245:246]
	v_add_f64 v[68:69], v[76:77], v[68:69]
	v_fma_f64 v[76:77], v[208:209], s[28:29], v[110:111]
	v_add_f64 v[70:71], v[78:79], v[70:71]
	v_fma_f64 v[110:111], v[208:209], s[28:29], -v[110:111]
	v_add_f64 v[68:69], v[76:77], v[68:69]
	v_mul_f64 v[76:77], v[176:177], s[54:55]
	v_add_f64 v[70:71], v[110:111], v[70:71]
	v_mul_f64 v[110:111], v[168:169], s[52:53]
	v_fma_f64 v[118:119], v[170:171], s[30:31], v[76:77]
	v_fma_f64 v[76:77], v[170:171], s[30:31], -v[76:77]
	v_fma_f64 v[64:65], v[160:161], s[6:7], v[110:111]
	v_fma_f64 v[110:111], v[160:161], s[6:7], -v[110:111]
	v_add_f64 v[68:69], v[118:119], v[68:69]
	v_mul_f64 v[118:119], v[234:235], s[22:23]
	v_add_f64 v[70:71], v[76:77], v[70:71]
	v_mul_f64 v[76:77], v[204:205], s[20:21]
	v_add_f64 v[66:67], v[64:65], v[68:69]
	v_fma_f64 v[120:121], v[194:195], s[16:17], -v[118:119]
	v_fma_f64 v[78:79], v[194:195], s[16:17], v[118:119]
	v_add_f64 v[68:69], v[74:75], v[62:63]
	v_mul_f64 v[74:75], v[200:201], s[34:35]
	v_add_f64 v[62:63], v[110:111], v[70:71]
	v_mul_f64 v[70:71], v[192:193], s[50:51]
	v_mul_f64 v[118:119], v[234:235], s[20:21]
	v_add_f64 v[120:121], v[32:33], v[120:121]
	v_add_f64 v[78:79], v[32:33], v[78:79]
	;; [unrolled: 1-line block ×3, first 2 shown]
	v_fma_f64 v[110:111], v[220:221], s[30:31], v[74:75]
	v_fma_f64 v[74:75], v[220:221], s[30:31], -v[74:75]
	v_mul_f64 v[220:221], v[176:177], s[22:23]
	v_add_f64 v[70:71], v[202:203], -v[70:71]
	v_mul_f64 v[202:203], v[152:153], s[30:31]
	v_add_f64 v[120:121], v[247:248], v[120:121]
	v_mul_f64 v[247:248], v[232:233], s[46:47]
	v_add_f64 v[78:79], v[112:113], v[78:79]
	v_add_f64 v[54:55], v[58:59], v[54:55]
	v_fma_f64 v[249:250], v[184:185], s[24:25], -v[247:248]
	v_fma_f64 v[112:113], v[184:185], s[24:25], v[247:248]
	v_add_f64 v[50:51], v[54:55], v[50:51]
	v_add_f64 v[120:121], v[249:250], v[120:121]
	v_mul_f64 v[249:250], v[236:237], s[44:45]
	v_add_f64 v[78:79], v[112:113], v[78:79]
	v_add_f64 v[46:47], v[50:51], v[46:47]
	v_fma_f64 v[251:252], v[174:175], s[4:5], -v[249:250]
	v_fma_f64 v[112:113], v[174:175], s[4:5], v[249:250]
	v_add_f64 v[42:43], v[46:47], v[42:43]
	v_add_f64 v[120:121], v[251:252], v[120:121]
	v_mul_f64 v[251:252], v[228:229], s[20:21]
	v_add_f64 v[78:79], v[112:113], v[78:79]
	v_add_f64 v[38:39], v[42:43], v[38:39]
	v_mul_f64 v[228:229], v[228:229], s[52:53]
	v_fma_f64 v[253:254], v[166:167], s[18:19], -v[251:252]
	v_fma_f64 v[112:113], v[166:167], s[18:19], v[251:252]
	v_add_f64 v[30:31], v[38:39], v[30:31]
	v_add_f64 v[120:121], v[253:254], v[120:121]
	v_mul_f64 v[253:254], v[226:227], s[36:37]
	v_add_f64 v[78:79], v[112:113], v[78:79]
	v_add_f64 v[26:27], v[30:31], v[26:27]
	v_mul_f64 v[226:227], v[226:227], s[8:9]
	v_fma_f64 v[122:123], v[152:153], s[28:29], -v[253:254]
	v_fma_f64 v[112:113], v[152:153], s[28:29], v[253:254]
	v_add_f64 v[22:23], v[26:27], v[22:23]
	v_fma_f64 v[58:59], v[152:153], s[4:5], v[226:227]
	v_add_f64 v[120:121], v[122:123], v[120:121]
	v_mul_f64 v[122:123], v[224:225], s[54:55]
	v_add_f64 v[78:79], v[112:113], v[78:79]
	v_mul_f64 v[112:113], v[172:173], s[52:53]
	;; [unrolled: 2-line block ×3, first 2 shown]
	v_mul_f64 v[172:173], v[172:173], s[36:37]
	v_fma_f64 v[114:115], v[148:149], s[30:31], v[122:123]
	v_fma_f64 v[124:125], v[148:149], s[30:31], -v[122:123]
	v_fma_f64 v[116:117], v[156:157], s[6:7], -v[112:113]
	v_fma_f64 v[112:113], v[156:157], s[6:7], v[112:113]
	v_fma_f64 v[54:55], v[148:149], s[16:17], v[224:225]
	v_add_f64 v[14:15], v[18:19], v[14:15]
	v_add_f64 v[18:19], v[16:17], v[12:13]
	v_fma_f64 v[52:53], v[156:157], s[28:29], v[172:173]
	v_add_f64 v[78:79], v[114:115], v[78:79]
	v_fma_f64 v[114:115], v[222:223], s[18:19], v[76:77]
	v_add_f64 v[120:121], v[124:125], v[120:121]
	v_fma_f64 v[76:77], v[222:223], s[18:19], -v[76:77]
	v_fma_f64 v[222:223], v[166:167], s[6:7], -v[228:229]
	v_add_f64 v[60:61], v[112:113], v[78:79]
	v_mul_f64 v[78:79], v[168:169], s[50:51]
	s_mov_b32 s51, 0x3fc7851a
	v_add_f64 v[112:113], v[34:35], v[114:115]
	v_mul_f64 v[114:115], v[196:197], s[50:51]
	v_add_f64 v[64:65], v[116:117], v[120:121]
	v_mul_f64 v[116:117], v[192:193], s[46:47]
	;; [unrolled: 2-line block ×3, first 2 shown]
	v_mul_f64 v[192:193], v[192:193], s[22:23]
	v_add_f64 v[110:111], v[110:111], v[112:113]
	v_fma_f64 v[112:113], v[216:217], s[40:41], v[114:115]
	v_fma_f64 v[114:115], v[216:217], s[40:41], -v[114:115]
	v_fma_f64 v[72:73], v[212:213], s[24:25], v[116:117]
	v_add_f64 v[74:75], v[74:75], v[76:77]
	v_fma_f64 v[76:77], v[170:171], s[16:17], v[220:221]
	v_fma_f64 v[116:117], v[212:213], s[24:25], -v[116:117]
	v_fma_f64 v[122:123], v[190:191], s[30:31], -v[120:121]
	v_mul_f64 v[212:213], v[190:191], s[16:17]
	v_add_f64 v[68:69], v[112:113], v[110:111]
	v_mul_f64 v[110:111], v[186:187], s[52:53]
	v_mul_f64 v[112:113], v[178:179], s[8:9]
	v_add_f64 v[74:75], v[114:115], v[74:75]
	v_mul_f64 v[114:115], v[204:205], s[8:9]
	v_mul_f64 v[204:205], v[204:205], s[14:15]
	v_fma_f64 v[120:121], v[190:191], s[30:31], v[120:121]
	v_fma_f64 v[216:217], v[148:149], s[16:17], -v[224:225]
	v_add_f64 v[68:69], v[72:73], v[68:69]
	v_fma_f64 v[72:73], v[206:207], s[6:7], v[110:111]
	v_fma_f64 v[110:111], v[206:207], s[6:7], -v[110:111]
	v_add_f64 v[74:75], v[116:117], v[74:75]
	v_add_f64 v[114:115], v[154:155], -v[114:115]
	v_add_f64 v[204:205], v[218:219], -v[204:205]
	v_mul_f64 v[206:207], v[194:195], s[6:7]
	v_mul_f64 v[116:117], v[190:191], s[6:7]
	;; [unrolled: 1-line block ×3, first 2 shown]
	v_add_f64 v[68:69], v[72:73], v[68:69]
	v_fma_f64 v[72:73], v[208:209], s[4:5], v[112:113]
	v_fma_f64 v[112:113], v[208:209], s[4:5], -v[112:113]
	v_mul_f64 v[208:209], v[200:201], s[14:15]
	v_add_f64 v[74:75], v[110:111], v[74:75]
	v_mul_f64 v[110:111], v[196:197], s[20:21]
	v_add_f64 v[204:205], v[34:35], v[204:205]
	v_add_f64 v[34:35], v[34:35], v[114:115]
	v_mul_f64 v[200:201], v[200:201], s[22:23]
	v_add_f64 v[68:69], v[72:73], v[68:69]
	v_fma_f64 v[72:73], v[194:195], s[18:19], -v[118:119]
	v_fma_f64 v[118:119], v[194:195], s[18:19], v[118:119]
	v_add_f64 v[50:51], v[206:207], v[162:163]
	v_add_f64 v[114:115], v[116:117], v[140:141]
	v_mul_f64 v[196:197], v[196:197], s[34:35]
	v_mul_f64 v[218:219], v[156:157], s[40:41]
	v_add_f64 v[200:201], v[214:215], -v[200:201]
	v_add_f64 v[68:69], v[76:77], v[68:69]
	v_mul_f64 v[76:77], v[194:195], s[4:5]
	v_add_f64 v[72:73], v[32:33], v[72:73]
	v_mul_f64 v[194:195], v[184:185], s[18:19]
	v_mul_f64 v[214:215], v[184:185], s[30:31]
	v_add_f64 v[118:119], v[32:33], v[118:119]
	v_add_f64 v[196:197], v[210:211], -v[196:197]
	v_mul_f64 v[210:211], v[174:175], s[40:41]
	v_add_f64 v[200:201], v[200:201], v[204:205]
	v_add_f64 v[48:49], v[76:77], v[144:145]
	v_add_f64 v[144:145], v[146:147], -v[208:209]
	v_add_f64 v[72:73], v[122:123], v[72:73]
	v_mul_f64 v[122:123], v[232:233], s[50:51]
	v_add_f64 v[76:77], v[212:213], v[164:165]
	v_mul_f64 v[204:205], v[166:167], s[24:25]
	v_add_f64 v[46:47], v[214:215], v[158:159]
	v_add_f64 v[118:119], v[120:121], v[118:119]
	;; [unrolled: 1-line block ×3, first 2 shown]
	v_add_f64 v[48:49], v[138:139], -v[110:111]
	v_add_f64 v[34:35], v[144:145], v[34:35]
	v_fma_f64 v[124:125], v[184:185], s[40:41], -v[122:123]
	v_fma_f64 v[122:123], v[184:185], s[40:41], v[122:123]
	v_mul_f64 v[184:185], v[186:187], s[26:27]
	v_add_f64 v[32:33], v[32:33], v[50:51]
	v_add_f64 v[50:51], v[194:195], v[134:135]
	;; [unrolled: 1-line block ×3, first 2 shown]
	v_add_f64 v[44:45], v[132:133], -v[192:193]
	v_add_f64 v[34:35], v[48:49], v[34:35]
	v_add_f64 v[48:49], v[190:191], v[128:129]
	v_mul_f64 v[120:121], v[166:167], s[28:29]
	v_add_f64 v[196:197], v[196:197], v[200:201]
	v_add_f64 v[32:33], v[76:77], v[32:33]
	v_mul_f64 v[200:201], v[178:179], s[34:35]
	v_add_f64 v[36:37], v[50:51], v[40:41]
	v_add_f64 v[40:41], v[126:127], -v[184:185]
	v_add_f64 v[34:35], v[44:45], v[34:35]
	buffer_load_dword v44, off, s[60:63], 0 offset:64 ; 4-byte Folded Reload
	buffer_load_dword v45, off, s[60:63], 0 offset:68 ; 4-byte Folded Reload
	v_add_f64 v[42:43], v[210:211], v[150:151]
	v_add_f64 v[38:39], v[120:121], v[142:143]
	;; [unrolled: 1-line block ×5, first 2 shown]
	buffer_load_dword v36, off, s[60:63], 0 offset:40 ; 4-byte Folded Reload
	buffer_load_dword v37, off, s[60:63], 0 offset:44 ; 4-byte Folded Reload
	v_add_f64 v[34:35], v[40:41], v[34:35]
	buffer_load_dword v40, off, s[60:63], 0 offset:32 ; 4-byte Folded Reload
	buffer_load_dword v41, off, s[60:63], 0 offset:36 ; 4-byte Folded Reload
	v_mul_f64 v[124:125], v[236:237], s[46:47]
	v_add_f64 v[118:119], v[122:123], v[118:119]
	v_add_f64 v[30:31], v[42:43], v[32:33]
	v_mul_f64 v[186:187], v[186:187], s[38:39]
	v_mul_f64 v[178:179], v[178:179], s[46:47]
	v_add_f64 v[70:71], v[70:71], v[196:197]
	v_fma_f64 v[166:167], v[166:167], s[6:7], v[228:229]
	v_mul_f64 v[122:123], v[148:149], s[28:29]
	v_fma_f64 v[230:231], v[174:175], s[24:25], -v[124:125]
	v_fma_f64 v[124:125], v[174:175], s[24:25], v[124:125]
	v_add_f64 v[26:27], v[38:39], v[30:31]
	buffer_load_dword v30, off, s[60:63], 0 offset:24 ; 4-byte Folded Reload
	buffer_load_dword v31, off, s[60:63], 0 offset:28 ; 4-byte Folded Reload
	v_mul_f64 v[174:175], v[152:153], s[24:25]
	v_add_f64 v[186:187], v[198:199], -v[186:187]
	v_mul_f64 v[198:199], v[176:177], s[36:37]
	v_mul_f64 v[196:197], v[148:149], s[18:19]
	v_add_f64 v[72:73], v[230:231], v[72:73]
	v_add_f64 v[118:119], v[124:125], v[118:119]
	v_mul_f64 v[124:125], v[156:157], s[4:5]
	v_mul_f64 v[176:177], v[176:177], s[48:49]
	v_add_f64 v[32:33], v[174:175], v[136:137]
	v_add_f64 v[178:179], v[188:189], -v[178:179]
	v_add_f64 v[70:71], v[186:187], v[70:71]
	v_fma_f64 v[170:171], v[170:171], s[16:17], -v[220:221]
	v_add_f64 v[72:73], v[222:223], v[72:73]
	v_fma_f64 v[222:223], v[152:153], s[4:5], -v[226:227]
	v_add_f64 v[118:119], v[166:167], v[118:119]
	v_add_f64 v[152:153], v[182:183], -v[176:177]
	v_add_f64 v[22:23], v[32:33], v[26:27]
	v_add_f64 v[74:75], v[112:113], v[74:75]
	v_add_f64 v[70:71], v[178:179], v[70:71]
	v_fma_f64 v[188:189], v[156:157], s[28:29], -v[172:173]
	v_add_f64 v[72:73], v[222:223], v[72:73]
	v_add_f64 v[58:59], v[58:59], v[118:119]
	;; [unrolled: 1-line block ×5, first 2 shown]
	v_mul_f64 v[216:217], v[168:169], s[36:37]
	v_mul_f64 v[168:169], v[168:169], s[44:45]
	v_fma_f64 v[56:57], v[160:161], s[28:29], -v[216:217]
	v_add_f64 v[118:119], v[180:181], -v[168:169]
	v_fma_f64 v[112:113], v[160:161], s[28:29], v[216:217]
	v_add_f64 v[12:13], v[56:57], v[74:75]
	v_add_f64 v[16:17], v[118:119], v[70:71]
	s_waitcnt vmcnt(6)
	v_add_f64 v[44:45], v[204:205], v[44:45]
	s_waitcnt vmcnt(4)
	v_add_f64 v[36:37], v[36:37], -v[200:201]
	s_waitcnt vmcnt(2)
	v_add_f64 v[40:41], v[202:203], v[40:41]
	v_add_f64 v[24:25], v[44:45], v[28:29]
	;; [unrolled: 1-line block ×4, first 2 shown]
	buffer_load_dword v36, off, s[60:63], 0 offset:16 ; 4-byte Folded Reload
	buffer_load_dword v37, off, s[60:63], 0 offset:20 ; 4-byte Folded Reload
	v_add_f64 v[20:21], v[40:41], v[24:25]
	buffer_load_dword v24, off, s[60:63], 0 offset:72 ; 4-byte Folded Reload
	buffer_load_dword v25, off, s[60:63], 0 offset:76 ; 4-byte Folded Reload
	v_add_f64 v[28:29], v[28:29], v[22:23]
	s_waitcnt vmcnt(4)
	v_add_f64 v[30:31], v[30:31], -v[198:199]
	v_add_f64 v[22:23], v[18:19], v[8:9]
	v_mul_u32_u24_e32 v8, 0x110, v106
	v_add3_u32 v8, 0, v8, v240
	v_add_f64 v[30:31], v[30:31], v[34:35]
	s_waitcnt vmcnt(2)
	v_add_f64 v[36:37], v[122:123], v[36:37]
	s_waitcnt vmcnt(0)
	v_add_f64 v[26:27], v[124:125], v[24:25]
	buffer_load_dword v24, off, s[60:63], 0 offset:8 ; 4-byte Folded Reload
	buffer_load_dword v25, off, s[60:63], 0 offset:12 ; 4-byte Folded Reload
	buffer_load_dword v32, off, s[60:63], 0 ; 4-byte Folded Reload
	buffer_load_dword v33, off, s[60:63], 0 offset:4 ; 4-byte Folded Reload
	v_add_f64 v[34:35], v[36:37], v[20:21]
	v_add_f64 v[36:37], v[54:55], v[58:59]
	s_waitcnt vmcnt(2)
	v_add_f64 v[24:25], v[24:25], -v[78:79]
	s_waitcnt vmcnt(0)
	v_add_f64 v[32:33], v[218:219], v[32:33]
	v_add_f64 v[20:21], v[24:25], v[30:31]
	;; [unrolled: 1-line block ×6, first 2 shown]
	ds_write_b128 v8, v[22:25]
	ds_write_b128 v8, v[18:21] offset:16
	ds_write_b128 v8, v[14:17] offset:32
	;; [unrolled: 1-line block ×8, first 2 shown]
	buffer_load_dword v9, off, s[60:63], 0 offset:48 ; 4-byte Folded Reload
	buffer_load_dword v10, off, s[60:63], 0 offset:52 ; 4-byte Folded Reload
	;; [unrolled: 1-line block ×4, first 2 shown]
	v_add_f64 v[28:29], v[112:113], v[68:69]
	v_add_f64 v[26:27], v[188:189], v[72:73]
	s_waitcnt vmcnt(0)
	ds_write_b128 v8, v[9:12] offset:144
	ds_write_b128 v8, v[84:87] offset:160
	;; [unrolled: 1-line block ×8, first 2 shown]
.LBB0_20:
	s_or_b64 exec, exec, s[42:43]
	s_waitcnt lgkmcnt(0)
	s_barrier
	ds_read_b128 v[28:31], v239
	ds_read_b128 v[24:27], v107 offset:1360
	ds_read_b128 v[60:63], v107 offset:8704
	;; [unrolled: 1-line block ×14, first 2 shown]
	v_cmp_gt_u32_e32 vcc, 17, v106
                                        ; implicit-def: $vgpr18_vgpr19
                                        ; implicit-def: $vgpr14_vgpr15
                                        ; implicit-def: $vgpr10_vgpr11
	s_and_saveexec_b64 s[4:5], vcc
	s_cbranch_execz .LBB0_22
; %bb.21:
	ds_read_b128 v[0:3], v107 offset:4080
	ds_read_b128 v[4:7], v107 offset:8432
	;; [unrolled: 1-line block ×5, first 2 shown]
.LBB0_22:
	s_or_b64 exec, exec, s[4:5]
	s_movk_i32 s4, 0xf1
	v_mul_lo_u16_sdwa v80, v106, s4 dst_sel:DWORD dst_unused:UNUSED_PAD src0_sel:BYTE_0 src1_sel:DWORD
	v_lshrrev_b16_e32 v80, 12, v80
	v_mul_lo_u16_e32 v81, 17, v80
	v_sub_u16_e32 v81, v106, v81
	v_mov_b32_e32 v102, 6
	v_lshlrev_b32_sdwa v82, v102, v81 dst_sel:DWORD dst_unused:UNUSED_PAD src0_sel:DWORD src1_sel:BYTE_0
	global_load_dwordx4 v[86:89], v82, s[12:13] offset:48
	global_load_dwordx4 v[90:93], v82, s[12:13] offset:32
	;; [unrolled: 1-line block ×3, first 2 shown]
	global_load_dwordx4 v[98:101], v82, s[12:13]
	v_add_u16_e32 v83, 0x55, v106
	v_mul_lo_u16_sdwa v82, v83, s4 dst_sel:DWORD dst_unused:UNUSED_PAD src0_sel:BYTE_0 src1_sel:DWORD
	v_lshrrev_b16_e32 v82, 12, v82
	v_mul_lo_u16_e32 v84, 17, v82
	v_sub_u16_e32 v83, v83, v84
	v_lshlrev_b32_sdwa v84, v102, v83 dst_sel:DWORD dst_unused:UNUSED_PAD src0_sel:DWORD src1_sel:BYTE_0
	v_add_u16_e32 v85, 0xaa, v106
	global_load_dwordx4 v[110:113], v84, s[12:13] offset:16
	global_load_dwordx4 v[114:117], v84, s[12:13]
	global_load_dwordx4 v[118:121], v84, s[12:13] offset:48
	global_load_dwordx4 v[122:125], v84, s[12:13] offset:32
	v_mul_lo_u16_sdwa v84, v85, s4 dst_sel:DWORD dst_unused:UNUSED_PAD src0_sel:BYTE_0 src1_sel:DWORD
	v_lshrrev_b16_e32 v84, 12, v84
	v_mul_lo_u16_e32 v103, 17, v84
	v_sub_u16_e32 v85, v85, v103
	v_lshlrev_b32_sdwa v102, v102, v85 dst_sel:DWORD dst_unused:UNUSED_PAD src0_sel:DWORD src1_sel:BYTE_0
	global_load_dwordx4 v[126:129], v102, s[12:13]
	global_load_dwordx4 v[130:133], v102, s[12:13] offset:16
	global_load_dwordx4 v[134:137], v102, s[12:13] offset:32
	;; [unrolled: 1-line block ×3, first 2 shown]
	s_mov_b32 s8, 0x134454ff
	s_mov_b32 s9, 0xbfee6f0e
	s_mov_b32 s17, 0x3fee6f0e
	s_mov_b32 s16, s8
	s_mov_b32 s6, 0x4755a5e
	s_mov_b32 s7, 0xbfe2cf23
	s_mov_b32 s15, 0x3fe2cf23
	s_mov_b32 s14, s6
	s_mov_b32 s4, 0x372fe950
	s_mov_b32 s5, 0x3fd3c6ef
	s_movk_i32 s18, 0x550
	v_mad_u32_u24 v80, v80, s18, 0
	s_waitcnt vmcnt(0) lgkmcnt(0)
	s_barrier
	v_mul_f64 v[146:147], v[58:59], v[88:89]
	v_mul_f64 v[144:145], v[78:79], v[92:93]
	;; [unrolled: 1-line block ×8, first 2 shown]
	v_fma_f64 v[56:57], v[56:57], v[86:87], v[146:147]
	v_fma_f64 v[76:77], v[76:77], v[90:91], v[144:145]
	v_mul_f64 v[154:155], v[34:35], v[120:121]
	v_mul_f64 v[120:121], v[32:33], v[120:121]
	v_fma_f64 v[72:73], v[72:73], v[98:99], v[102:103]
	v_fma_f64 v[60:61], v[60:61], v[94:95], v[142:143]
	v_mul_f64 v[156:157], v[46:47], v[128:129]
	v_mul_f64 v[148:149], v[66:67], v[116:117]
	;; [unrolled: 1-line block ×11, first 2 shown]
	v_fma_f64 v[74:75], v[74:75], v[98:99], -v[100:101]
	v_fma_f64 v[62:63], v[62:63], v[94:95], -v[96:97]
	v_fma_f64 v[78:79], v[78:79], v[90:91], -v[92:93]
	v_fma_f64 v[58:59], v[58:59], v[86:87], -v[88:89]
	v_fma_f64 v[92:93], v[34:35], v[118:119], -v[120:121]
	v_fma_f64 v[94:95], v[44:45], v[126:127], v[156:157]
	v_add_f64 v[34:35], v[60:61], v[76:77]
	v_add_f64 v[44:45], v[72:73], v[56:57]
	v_mul_f64 v[136:137], v[52:53], v[136:137]
	v_fma_f64 v[64:65], v[64:65], v[114:115], v[148:149]
	v_fma_f64 v[66:67], v[66:67], v[114:115], -v[116:117]
	v_fma_f64 v[86:87], v[36:37], v[110:111], v[150:151]
	v_fma_f64 v[88:89], v[38:39], v[110:111], -v[112:113]
	;; [unrolled: 2-line block ×4, first 2 shown]
	v_fma_f64 v[102:103], v[52:53], v[134:135], v[160:161]
	v_fma_f64 v[112:113], v[40:41], v[138:139], v[162:163]
	v_fma_f64 v[114:115], v[42:43], v[138:139], -v[140:141]
	v_add_f64 v[32:33], v[28:29], v[72:73]
	v_add_f64 v[36:37], v[74:75], -v[58:59]
	v_add_f64 v[38:39], v[62:63], -v[78:79]
	;; [unrolled: 1-line block ×6, first 2 shown]
	v_add_f64 v[50:51], v[30:31], v[74:75]
	v_add_f64 v[52:53], v[62:63], v[78:79]
	;; [unrolled: 1-line block ×3, first 2 shown]
	v_fma_f64 v[34:35], v[34:35], -0.5, v[28:29]
	v_fma_f64 v[28:29], v[44:45], -0.5, v[28:29]
	v_mul_f64 v[152:153], v[70:71], v[124:125]
	v_mul_f64 v[124:125], v[68:69], v[124:125]
	v_add_f64 v[32:33], v[32:33], v[60:61]
	v_add_f64 v[40:41], v[40:41], v[42:43]
	;; [unrolled: 1-line block ×4, first 2 shown]
	v_fma_f64 v[46:47], v[52:53], -0.5, v[30:31]
	v_fma_f64 v[48:49], v[120:121], -0.5, v[30:31]
	v_fma_f64 v[30:31], v[36:37], s[8:9], v[34:35]
	v_fma_f64 v[34:35], v[36:37], s[16:17], v[34:35]
	;; [unrolled: 1-line block ×5, first 2 shown]
	v_fma_f64 v[70:71], v[70:71], v[122:123], -v[124:125]
	v_fma_f64 v[110:111], v[54:55], v[134:135], -v[136:137]
	v_add_f64 v[54:55], v[72:73], -v[56:57]
	v_add_f64 v[72:73], v[60:61], -v[76:77]
	v_add_f64 v[122:123], v[24:25], v[64:65]
	v_add_f64 v[32:33], v[32:33], v[76:77]
	v_add_f64 v[44:45], v[44:45], v[78:79]
	v_fma_f64 v[60:61], v[38:39], s[6:7], v[30:31]
	v_fma_f64 v[34:35], v[38:39], s[14:15], v[34:35]
	;; [unrolled: 1-line block ×4, first 2 shown]
	v_add_f64 v[116:117], v[74:75], -v[62:63]
	v_add_f64 v[118:119], v[58:59], -v[78:79]
	v_add_f64 v[124:125], v[86:87], v[68:69]
	v_fma_f64 v[52:53], v[54:55], s[16:17], v[46:47]
	v_fma_f64 v[46:47], v[54:55], s[8:9], v[46:47]
	;; [unrolled: 1-line block ×3, first 2 shown]
	v_add_f64 v[28:29], v[32:33], v[56:57]
	v_add_f64 v[30:31], v[44:45], v[58:59]
	v_fma_f64 v[32:33], v[40:41], s[4:5], v[60:61]
	v_fma_f64 v[36:37], v[40:41], s[4:5], v[34:35]
	;; [unrolled: 1-line block ×4, first 2 shown]
	v_add_f64 v[34:35], v[62:63], -v[74:75]
	v_add_f64 v[38:39], v[78:79], -v[58:59]
	v_fma_f64 v[42:43], v[72:73], s[16:17], v[48:49]
	v_add_f64 v[50:51], v[122:123], v[86:87]
	v_fma_f64 v[52:53], v[72:73], s[14:15], v[52:53]
	v_add_f64 v[48:49], v[116:117], v[118:119]
	v_fma_f64 v[46:47], v[72:73], s[6:7], v[46:47]
	v_fma_f64 v[56:57], v[124:125], -0.5, v[24:25]
	v_add_f64 v[58:59], v[66:67], -v[92:93]
	v_fma_f64 v[60:61], v[54:55], s[14:15], v[76:77]
	v_add_f64 v[62:63], v[34:35], v[38:39]
	v_fma_f64 v[54:55], v[54:55], s[6:7], v[42:43]
	v_add_f64 v[72:73], v[64:65], v[90:91]
	v_add_f64 v[50:51], v[50:51], v[68:69]
	v_fma_f64 v[34:35], v[48:49], s[4:5], v[52:53]
	v_fma_f64 v[38:39], v[48:49], s[4:5], v[46:47]
	v_fma_f64 v[48:49], v[58:59], s[8:9], v[56:57]
	v_add_f64 v[52:53], v[88:89], -v[70:71]
	v_fma_f64 v[42:43], v[62:63], s[4:5], v[60:61]
	v_fma_f64 v[46:47], v[62:63], s[4:5], v[54:55]
	v_fma_f64 v[54:55], v[72:73], -0.5, v[24:25]
	v_add_f64 v[24:25], v[50:51], v[90:91]
	v_add_f64 v[50:51], v[64:65], -v[86:87]
	v_add_f64 v[60:61], v[90:91], -v[68:69]
	v_fma_f64 v[56:57], v[58:59], s[16:17], v[56:57]
	v_fma_f64 v[48:49], v[52:53], s[6:7], v[48:49]
	v_add_f64 v[62:63], v[26:27], v[66:67]
	v_add_f64 v[72:73], v[88:89], v[70:71]
	v_fma_f64 v[74:75], v[52:53], s[16:17], v[54:55]
	v_add_f64 v[76:77], v[86:87], -v[64:65]
	v_add_f64 v[78:79], v[68:69], -v[90:91]
	v_add_f64 v[50:51], v[50:51], v[60:61]
	v_fma_f64 v[56:57], v[52:53], s[14:15], v[56:57]
	v_fma_f64 v[54:55], v[52:53], s[8:9], v[54:55]
	v_add_f64 v[60:61], v[62:63], v[88:89]
	v_fma_f64 v[62:63], v[72:73], -0.5, v[26:27]
	v_add_f64 v[64:65], v[64:65], -v[90:91]
	v_fma_f64 v[72:73], v[58:59], s[6:7], v[74:75]
	v_add_f64 v[74:75], v[76:77], v[78:79]
	v_fma_f64 v[48:49], v[50:51], s[4:5], v[48:49]
	v_fma_f64 v[52:53], v[50:51], s[4:5], v[56:57]
	v_fma_f64 v[50:51], v[58:59], s[14:15], v[54:55]
	v_add_f64 v[58:59], v[66:67], v[92:93]
	v_add_f64 v[54:55], v[60:61], v[70:71]
	v_fma_f64 v[76:77], v[64:65], s[16:17], v[62:63]
	v_add_f64 v[68:69], v[86:87], -v[68:69]
	v_fma_f64 v[56:57], v[74:75], s[4:5], v[72:73]
	v_add_f64 v[72:73], v[98:99], v[102:103]
	v_add_f64 v[78:79], v[66:67], -v[88:89]
	v_add_f64 v[86:87], v[92:93], -v[70:71]
	v_fma_f64 v[60:61], v[74:75], s[4:5], v[50:51]
	v_fma_f64 v[50:51], v[58:59], -0.5, v[26:27]
	v_add_f64 v[26:27], v[54:55], v[92:93]
	v_fma_f64 v[54:55], v[68:69], s[14:15], v[76:77]
	v_add_f64 v[58:59], v[20:21], v[94:95]
	v_fma_f64 v[72:73], v[72:73], -0.5, v[20:21]
	v_add_f64 v[74:75], v[96:97], -v[114:115]
	v_add_f64 v[76:77], v[78:79], v[86:87]
	v_fma_f64 v[62:63], v[64:65], s[8:9], v[62:63]
	v_fma_f64 v[78:79], v[68:69], s[8:9], v[50:51]
	v_add_f64 v[66:67], v[88:89], -v[66:67]
	v_add_f64 v[70:71], v[70:71], -v[92:93]
	v_fma_f64 v[50:51], v[68:69], s[16:17], v[50:51]
	v_add_f64 v[58:59], v[58:59], v[98:99]
	v_fma_f64 v[86:87], v[74:75], s[8:9], v[72:73]
	v_add_f64 v[88:89], v[100:101], -v[110:111]
	v_add_f64 v[90:91], v[94:95], -v[98:99]
	;; [unrolled: 1-line block ×3, first 2 shown]
	v_fma_f64 v[62:63], v[68:69], s[6:7], v[62:63]
	v_fma_f64 v[78:79], v[64:65], s[14:15], v[78:79]
	v_add_f64 v[66:67], v[66:67], v[70:71]
	v_fma_f64 v[64:65], v[64:65], s[6:7], v[50:51]
	v_add_f64 v[68:69], v[94:95], v[112:113]
	v_add_f64 v[70:71], v[58:59], v[102:103]
	v_fma_f64 v[86:87], v[88:89], s[6:7], v[86:87]
	v_add_f64 v[90:91], v[90:91], v[92:93]
	v_fma_f64 v[50:51], v[76:77], s[4:5], v[54:55]
	v_fma_f64 v[54:55], v[76:77], s[4:5], v[62:63]
	;; [unrolled: 1-line block ×4, first 2 shown]
	v_add_f64 v[66:67], v[100:101], v[110:111]
	v_add_f64 v[78:79], v[96:97], v[114:115]
	;; [unrolled: 1-line block ×3, first 2 shown]
	v_fma_f64 v[68:69], v[68:69], -0.5, v[20:21]
	v_add_f64 v[20:21], v[70:71], v[112:113]
	v_fma_f64 v[64:65], v[90:91], s[4:5], v[86:87]
	v_fma_f64 v[70:71], v[74:75], s[16:17], v[72:73]
	v_add_f64 v[76:77], v[98:99], -v[94:95]
	v_add_f64 v[86:87], v[102:103], -v[112:113]
	v_fma_f64 v[66:67], v[66:67], -0.5, v[22:23]
	v_add_f64 v[94:95], v[94:95], -v[112:113]
	v_add_f64 v[98:99], v[98:99], -v[102:103]
	v_fma_f64 v[22:23], v[78:79], -0.5, v[22:23]
	v_add_f64 v[78:79], v[92:93], v[100:101]
	v_fma_f64 v[72:73], v[88:89], s[16:17], v[68:69]
	v_fma_f64 v[70:71], v[88:89], s[14:15], v[70:71]
	v_add_f64 v[76:77], v[76:77], v[86:87]
	v_fma_f64 v[68:69], v[88:89], s[8:9], v[68:69]
	v_fma_f64 v[86:87], v[94:95], s[16:17], v[66:67]
	v_add_f64 v[88:89], v[96:97], -v[100:101]
	v_add_f64 v[92:93], v[114:115], -v[110:111]
	v_fma_f64 v[66:67], v[94:95], s[8:9], v[66:67]
	v_fma_f64 v[102:103], v[98:99], s[8:9], v[22:23]
	v_add_f64 v[96:97], v[100:101], -v[96:97]
	v_add_f64 v[100:101], v[110:111], -v[114:115]
	v_fma_f64 v[22:23], v[98:99], s[16:17], v[22:23]
	v_add_f64 v[78:79], v[78:79], v[110:111]
	v_fma_f64 v[86:87], v[98:99], s[14:15], v[86:87]
	v_add_f64 v[88:89], v[88:89], v[92:93]
	v_fma_f64 v[72:73], v[74:75], s[6:7], v[72:73]
	v_fma_f64 v[74:75], v[74:75], s[14:15], v[68:69]
	;; [unrolled: 1-line block ×4, first 2 shown]
	v_add_f64 v[96:97], v[96:97], v[100:101]
	v_fma_f64 v[94:95], v[94:95], s[6:7], v[22:23]
	v_add_f64 v[22:23], v[78:79], v[114:115]
	v_fma_f64 v[66:67], v[88:89], s[4:5], v[86:87]
	v_mov_b32_e32 v86, 4
	v_fma_f64 v[72:73], v[76:77], s[4:5], v[72:73]
	v_fma_f64 v[76:77], v[76:77], s[4:5], v[74:75]
	v_lshlrev_b32_sdwa v81, v86, v81 dst_sel:DWORD dst_unused:UNUSED_PAD src0_sel:DWORD src1_sel:BYTE_0
	v_fma_f64 v[74:75], v[96:97], s[4:5], v[98:99]
	v_fma_f64 v[78:79], v[96:97], s[4:5], v[94:95]
	v_add3_u32 v80, v80, v81, v240
	v_fma_f64 v[68:69], v[90:91], s[4:5], v[70:71]
	v_fma_f64 v[70:71], v[88:89], s[4:5], v[92:93]
	ds_write_b128 v80, v[28:31]
	ds_write_b128 v80, v[32:35] offset:272
	ds_write_b128 v80, v[40:43] offset:544
	;; [unrolled: 1-line block ×4, first 2 shown]
	v_mad_u32_u24 v28, v82, s18, 0
	v_lshlrev_b32_sdwa v29, v86, v83 dst_sel:DWORD dst_unused:UNUSED_PAD src0_sel:DWORD src1_sel:BYTE_0
	v_add3_u32 v28, v28, v29, v240
	ds_write_b128 v28, v[24:27]
	ds_write_b128 v28, v[48:51] offset:272
	ds_write_b128 v28, v[56:59] offset:544
	;; [unrolled: 1-line block ×4, first 2 shown]
	v_mad_u32_u24 v24, v84, s18, 0
	v_lshlrev_b32_sdwa v25, v86, v85 dst_sel:DWORD dst_unused:UNUSED_PAD src0_sel:DWORD src1_sel:BYTE_0
	v_add3_u32 v24, v24, v25, v240
	ds_write_b128 v24, v[20:23]
	ds_write_b128 v24, v[64:67] offset:272
	ds_write_b128 v24, v[72:75] offset:544
	;; [unrolled: 1-line block ×4, first 2 shown]
	s_and_saveexec_b64 s[18:19], vcc
	s_cbranch_execz .LBB0_24
; %bb.23:
	v_add_u32_e32 v20, 0xff, v106
	s_mov_b32 s20, 0xf0f1
	v_mul_u32_u24_sdwa v21, v20, s20 dst_sel:DWORD dst_unused:UNUSED_PAD src0_sel:WORD_0 src1_sel:DWORD
	v_lshrrev_b32_e32 v21, 20, v21
	v_mul_lo_u16_e32 v21, 17, v21
	v_sub_u16_e32 v52, v20, v21
	v_lshlrev_b32_e32 v36, 6, v52
	global_load_dwordx4 v[20:23], v36, s[12:13] offset:16
	global_load_dwordx4 v[24:27], v36, s[12:13]
	global_load_dwordx4 v[28:31], v36, s[12:13] offset:32
	global_load_dwordx4 v[32:35], v36, s[12:13] offset:48
	s_waitcnt vmcnt(3)
	v_mul_f64 v[36:37], v[8:9], v[22:23]
	s_waitcnt vmcnt(2)
	v_mul_f64 v[38:39], v[4:5], v[26:27]
	s_waitcnt vmcnt(1)
	v_mul_f64 v[40:41], v[12:13], v[30:31]
	s_waitcnt vmcnt(0)
	v_mul_f64 v[42:43], v[16:17], v[34:35]
	v_mul_f64 v[22:23], v[10:11], v[22:23]
	v_mul_f64 v[30:31], v[14:15], v[30:31]
	;; [unrolled: 1-line block ×4, first 2 shown]
	v_fma_f64 v[10:11], v[10:11], v[20:21], -v[36:37]
	v_fma_f64 v[6:7], v[6:7], v[24:25], -v[38:39]
	;; [unrolled: 1-line block ×4, first 2 shown]
	v_fma_f64 v[8:9], v[8:9], v[20:21], v[22:23]
	v_fma_f64 v[12:13], v[12:13], v[28:29], v[30:31]
	;; [unrolled: 1-line block ×4, first 2 shown]
	v_add_f64 v[20:21], v[10:11], -v[6:7]
	v_add_f64 v[30:31], v[6:7], -v[10:11]
	;; [unrolled: 1-line block ×3, first 2 shown]
	v_add_f64 v[26:27], v[6:7], v[18:19]
	v_add_f64 v[32:33], v[18:19], -v[14:15]
	v_add_f64 v[34:35], v[10:11], v[14:15]
	v_add_f64 v[42:43], v[4:5], v[16:17]
	;; [unrolled: 1-line block ×4, first 2 shown]
	v_add_f64 v[28:29], v[4:5], -v[16:17]
	v_add_f64 v[38:39], v[8:9], -v[4:5]
	;; [unrolled: 1-line block ×3, first 2 shown]
	v_add_f64 v[4:5], v[0:1], v[4:5]
	v_add_f64 v[24:25], v[8:9], -v[12:13]
	v_add_f64 v[40:41], v[12:13], -v[16:17]
	;; [unrolled: 1-line block ×3, first 2 shown]
	v_add_f64 v[20:21], v[20:21], v[22:23]
	v_fma_f64 v[22:23], v[26:27], -0.5, v[2:3]
	v_add_f64 v[26:27], v[30:31], v[32:33]
	v_fma_f64 v[2:3], v[34:35], -0.5, v[2:3]
	v_fma_f64 v[32:33], v[42:43], -0.5, v[0:1]
	;; [unrolled: 1-line block ×3, first 2 shown]
	v_add_f64 v[44:45], v[10:11], -v[14:15]
	v_add_f64 v[10:11], v[36:37], v[10:11]
	v_add_f64 v[4:5], v[4:5], v[8:9]
	v_add_f64 v[48:49], v[16:17], -v[12:13]
	v_add_f64 v[30:31], v[38:39], v[40:41]
	v_fma_f64 v[8:9], v[24:25], s[16:17], v[22:23]
	v_fma_f64 v[22:23], v[24:25], s[8:9], v[22:23]
	;; [unrolled: 1-line block ×6, first 2 shown]
	v_add_f64 v[10:11], v[10:11], v[14:15]
	v_fma_f64 v[14:15], v[44:45], s[8:9], v[32:33]
	v_fma_f64 v[32:33], v[44:45], s[16:17], v[32:33]
	v_add_f64 v[4:5], v[4:5], v[12:13]
	v_add_f64 v[34:35], v[46:47], v[48:49]
	v_fma_f64 v[12:13], v[28:29], s[14:15], v[22:23]
	v_fma_f64 v[22:23], v[24:25], s[6:7], v[36:37]
	;; [unrolled: 1-line block ×8, first 2 shown]
	v_add_f64 v[2:3], v[10:11], v[18:19]
	v_add_f64 v[0:1], v[4:5], v[16:17]
	v_fma_f64 v[18:19], v[26:27], s[4:5], v[24:25]
	v_fma_f64 v[16:17], v[34:35], s[4:5], v[36:37]
	;; [unrolled: 1-line block ×8, first 2 shown]
	v_lshlrev_b32_e32 v20, 4, v52
	v_add3_u32 v20, 0, v20, v240
	ds_write_b128 v20, v[0:3] offset:20400
	ds_write_b128 v20, v[16:19] offset:20672
	;; [unrolled: 1-line block ×5, first 2 shown]
.LBB0_24:
	s_or_b64 exec, exec, s[18:19]
	v_mul_u32_u24_e32 v0, 15, v106
	v_lshlrev_b32_e32 v60, 4, v0
	s_waitcnt lgkmcnt(0)
	s_barrier
	global_load_dwordx4 v[0:3], v60, s[12:13] offset:1088
	global_load_dwordx4 v[4:7], v60, s[12:13] offset:1104
	;; [unrolled: 1-line block ×15, first 2 shown]
	ds_read_b128 v[60:63], v239
	ds_read_b128 v[64:67], v107 offset:1360
	ds_read_b128 v[68:71], v107 offset:2720
	;; [unrolled: 1-line block ×15, first 2 shown]
	s_mov_b32 s4, 0x667f3bcd
	s_mov_b32 s5, 0xbfe6a09e
	;; [unrolled: 1-line block ×12, first 2 shown]
	s_waitcnt vmcnt(0) lgkmcnt(0)
	s_barrier
	v_mul_f64 v[130:131], v[66:67], v[2:3]
	v_mul_f64 v[2:3], v[64:65], v[2:3]
	;; [unrolled: 1-line block ×28, first 2 shown]
	v_fma_f64 v[64:65], v[64:65], v[0:1], v[130:131]
	v_fma_f64 v[0:1], v[66:67], v[0:1], -v[2:3]
	v_fma_f64 v[2:3], v[68:69], v[4:5], v[132:133]
	v_fma_f64 v[4:5], v[70:71], v[4:5], -v[6:7]
	;; [unrolled: 2-line block ×14, first 2 shown]
	v_mul_f64 v[158:159], v[128:129], v[58:59]
	v_mul_f64 v[58:59], v[126:127], v[58:59]
	v_add_f64 v[26:27], v[60:61], -v[26:27]
	v_add_f64 v[28:29], v[62:63], -v[28:29]
	;; [unrolled: 1-line block ×8, first 2 shown]
	v_fma_f64 v[54:55], v[126:127], v[56:57], v[158:159]
	v_fma_f64 v[56:57], v[128:129], v[56:57], -v[58:59]
	v_fma_f64 v[58:59], v[60:61], 2.0, -v[26:27]
	v_fma_f64 v[60:61], v[62:63], 2.0, -v[28:29]
	;; [unrolled: 1-line block ×8, first 2 shown]
	v_add_f64 v[30:31], v[64:65], -v[30:31]
	v_add_f64 v[32:33], v[0:1], -v[32:33]
	;; [unrolled: 1-line block ×10, first 2 shown]
	v_add_f64 v[44:45], v[26:27], v[44:45]
	v_add_f64 v[18:19], v[2:3], -v[18:19]
	v_add_f64 v[20:21], v[4:5], -v[20:21]
	v_add_f64 v[52:53], v[34:35], v[52:53]
	v_add_f64 v[42:43], v[28:29], -v[42:43]
	v_add_f64 v[50:51], v[36:37], -v[50:51]
	v_fma_f64 v[62:63], v[64:65], 2.0, -v[30:31]
	v_fma_f64 v[0:1], v[0:1], 2.0, -v[32:33]
	;; [unrolled: 1-line block ×14, first 2 shown]
	v_add_f64 v[48:49], v[30:31], v[48:49]
	v_add_f64 v[56:57], v[38:39], v[56:57]
	v_fma_f64 v[28:29], v[28:29], 2.0, -v[42:43]
	v_fma_f64 v[36:37], v[36:37], 2.0, -v[50:51]
	v_add_f64 v[46:47], v[32:33], -v[46:47]
	v_add_f64 v[54:55], v[40:41], -v[54:55]
	;; [unrolled: 1-line block ×6, first 2 shown]
	v_fma_f64 v[30:31], v[30:31], 2.0, -v[48:49]
	v_fma_f64 v[38:39], v[38:39], 2.0, -v[56:57]
	v_fma_f64 v[64:65], v[34:35], s[4:5], v[26:27]
	v_add_f64 v[68:69], v[58:59], -v[2:3]
	v_add_f64 v[70:71], v[60:61], -v[4:5]
	v_fma_f64 v[2:3], v[52:53], s[6:7], v[44:45]
	v_add_f64 v[74:75], v[12:13], -v[18:19]
	v_fma_f64 v[32:33], v[32:33], 2.0, -v[46:47]
	v_fma_f64 v[40:41], v[40:41], 2.0, -v[54:55]
	v_fma_f64 v[66:67], v[36:37], s[4:5], v[28:29]
	v_fma_f64 v[4:5], v[50:51], s[6:7], v[42:43]
	v_add_f64 v[72:73], v[10:11], v[20:21]
	v_fma_f64 v[62:63], v[62:63], 2.0, -v[14:15]
	v_fma_f64 v[0:1], v[0:1], 2.0, -v[16:17]
	;; [unrolled: 1-line block ×4, first 2 shown]
	v_fma_f64 v[64:65], v[36:37], s[6:7], v[64:65]
	v_fma_f64 v[20:21], v[60:61], 2.0, -v[70:71]
	v_fma_f64 v[60:61], v[50:51], s[6:7], v[2:3]
	v_fma_f64 v[36:37], v[12:13], 2.0, -v[74:75]
	v_fma_f64 v[2:3], v[38:39], s[4:5], v[30:31]
	v_fma_f64 v[12:13], v[54:55], s[6:7], v[46:47]
	;; [unrolled: 1-line block ×4, first 2 shown]
	v_fma_f64 v[34:35], v[10:11], 2.0, -v[72:73]
	v_fma_f64 v[4:5], v[40:41], s[4:5], v[32:33]
	v_fma_f64 v[10:11], v[56:57], s[6:7], v[48:49]
	v_add_f64 v[50:51], v[62:63], -v[6:7]
	v_add_f64 v[52:53], v[0:1], -v[8:9]
	v_fma_f64 v[40:41], v[40:41], s[6:7], v[2:3]
	v_add_f64 v[78:79], v[16:17], -v[22:23]
	v_fma_f64 v[56:57], v[56:57], s[4:5], v[12:13]
	v_fma_f64 v[18:19], v[58:59], 2.0, -v[68:69]
	v_fma_f64 v[38:39], v[38:39], s[4:5], v[4:5]
	v_add_f64 v[58:59], v[14:15], v[24:25]
	v_fma_f64 v[54:55], v[54:55], s[6:7], v[10:11]
	v_fma_f64 v[26:27], v[26:27], 2.0, -v[64:65]
	v_fma_f64 v[42:43], v[42:43], 2.0, -v[76:77]
	;; [unrolled: 1-line block ×12, first 2 shown]
	v_add_f64 v[0:1], v[18:19], -v[2:3]
	v_add_f64 v[2:3], v[20:21], -v[4:5]
	v_fma_f64 v[4:5], v[6:7], s[8:9], v[26:27]
	v_fma_f64 v[30:31], v[12:13], s[4:5], v[36:37]
	;; [unrolled: 1-line block ×14, first 2 shown]
	v_fma_f64 v[16:17], v[18:19], 2.0, -v[0:1]
	v_fma_f64 v[18:19], v[20:21], 2.0, -v[2:3]
	;; [unrolled: 1-line block ×5, first 2 shown]
	v_fma_f64 v[36:37], v[40:41], s[12:13], v[64:65]
	v_fma_f64 v[42:43], v[38:39], s[12:13], v[66:67]
	v_fma_f64 v[22:23], v[28:29], 2.0, -v[6:7]
	v_fma_f64 v[28:29], v[44:45], 2.0, -v[12:13]
	v_fma_f64 v[44:45], v[58:59], s[6:7], v[72:73]
	v_fma_f64 v[46:47], v[78:79], s[6:7], v[74:75]
	v_fma_f64 v[24:25], v[34:35], 2.0, -v[8:9]
	v_add_f64 v[32:33], v[68:69], v[52:53]
	v_add_f64 v[34:35], v[70:71], -v[50:51]
	v_fma_f64 v[36:37], v[38:39], s[16:17], v[36:37]
	v_fma_f64 v[38:39], v[40:41], s[8:9], v[42:43]
	;; [unrolled: 1-line block ×6, first 2 shown]
	v_fma_f64 v[48:49], v[68:69], 2.0, -v[32:33]
	v_fma_f64 v[50:51], v[70:71], 2.0, -v[34:35]
	;; [unrolled: 1-line block ×8, first 2 shown]
	ds_write_b128 v107, v[16:19]
	ds_write_b128 v107, v[20:23] offset:1360
	ds_write_b128 v107, v[24:27] offset:2720
	;; [unrolled: 1-line block ×15, first 2 shown]
	s_waitcnt lgkmcnt(0)
	s_barrier
	s_and_saveexec_b64 s[4:5], s[0:1]
	s_cbranch_execz .LBB0_26
; %bb.25:
	v_mul_lo_u32 v0, s3, v108
	v_mul_lo_u32 v1, s2, v109
	v_mad_u64_u32 v[4:5], s[0:1], s2, v108, 0
	v_mov_b32_e32 v6, s11
	v_lshl_add_u32 v10, v106, 4, v238
	v_add3_u32 v5, v5, v1, v0
	v_lshlrev_b64 v[4:5], 4, v[4:5]
	v_mov_b32_e32 v107, 0
	v_add_co_u32_e32 v7, vcc, s10, v4
	v_addc_co_u32_e32 v6, vcc, v6, v5, vcc
	v_lshlrev_b64 v[4:5], 4, v[104:105]
	ds_read_b128 v[0:3], v10
	v_add_co_u32_e32 v11, vcc, v7, v4
	v_addc_co_u32_e32 v12, vcc, v6, v5, vcc
	v_lshlrev_b64 v[4:5], 4, v[106:107]
	v_add_co_u32_e32 v8, vcc, v11, v4
	v_addc_co_u32_e32 v9, vcc, v12, v5, vcc
	ds_read_b128 v[4:7], v10 offset:1360
	s_waitcnt lgkmcnt(1)
	global_store_dwordx4 v[8:9], v[0:3], off
	s_nop 0
	v_add_u32_e32 v0, 0x55, v106
	v_mov_b32_e32 v1, v107
	v_lshlrev_b64 v[0:1], 4, v[0:1]
	v_add_co_u32_e32 v0, vcc, v11, v0
	v_addc_co_u32_e32 v1, vcc, v12, v1, vcc
	s_waitcnt lgkmcnt(0)
	global_store_dwordx4 v[0:1], v[4:7], off
	ds_read_b128 v[0:3], v10 offset:2720
	v_add_u32_e32 v4, 0xaa, v106
	v_mov_b32_e32 v5, v107
	v_lshlrev_b64 v[4:5], 4, v[4:5]
	v_add_co_u32_e32 v8, vcc, v11, v4
	v_addc_co_u32_e32 v9, vcc, v12, v5, vcc
	ds_read_b128 v[4:7], v10 offset:4080
	s_waitcnt lgkmcnt(1)
	global_store_dwordx4 v[8:9], v[0:3], off
	s_nop 0
	v_add_u32_e32 v0, 0xff, v106
	v_mov_b32_e32 v1, v107
	v_lshlrev_b64 v[0:1], 4, v[0:1]
	v_add_co_u32_e32 v0, vcc, v11, v0
	v_addc_co_u32_e32 v1, vcc, v12, v1, vcc
	s_waitcnt lgkmcnt(0)
	global_store_dwordx4 v[0:1], v[4:7], off
	ds_read_b128 v[0:3], v10 offset:5440
	v_add_u32_e32 v4, 0x154, v106
	v_mov_b32_e32 v5, v107
	v_lshlrev_b64 v[4:5], 4, v[4:5]
	v_add_co_u32_e32 v8, vcc, v11, v4
	v_addc_co_u32_e32 v9, vcc, v12, v5, vcc
	ds_read_b128 v[4:7], v10 offset:6800
	s_waitcnt lgkmcnt(1)
	global_store_dwordx4 v[8:9], v[0:3], off
	s_nop 0
	v_add_u32_e32 v0, 0x1a9, v106
	v_mov_b32_e32 v1, v107
	v_lshlrev_b64 v[0:1], 4, v[0:1]
	v_add_co_u32_e32 v0, vcc, v11, v0
	v_addc_co_u32_e32 v1, vcc, v12, v1, vcc
	s_waitcnt lgkmcnt(0)
	global_store_dwordx4 v[0:1], v[4:7], off
	ds_read_b128 v[0:3], v10 offset:8160
	v_add_u32_e32 v4, 0x1fe, v106
	v_mov_b32_e32 v5, v107
	v_lshlrev_b64 v[4:5], 4, v[4:5]
	v_add_co_u32_e32 v8, vcc, v11, v4
	v_addc_co_u32_e32 v9, vcc, v12, v5, vcc
	ds_read_b128 v[4:7], v10 offset:9520
	s_waitcnt lgkmcnt(1)
	global_store_dwordx4 v[8:9], v[0:3], off
	s_nop 0
	v_add_u32_e32 v0, 0x253, v106
	v_mov_b32_e32 v1, v107
	v_lshlrev_b64 v[0:1], 4, v[0:1]
	v_add_co_u32_e32 v0, vcc, v11, v0
	v_addc_co_u32_e32 v1, vcc, v12, v1, vcc
	s_waitcnt lgkmcnt(0)
	global_store_dwordx4 v[0:1], v[4:7], off
	ds_read_b128 v[0:3], v10 offset:10880
	v_add_u32_e32 v4, 0x2a8, v106
	v_mov_b32_e32 v5, v107
	v_lshlrev_b64 v[4:5], 4, v[4:5]
	v_add_co_u32_e32 v8, vcc, v11, v4
	v_addc_co_u32_e32 v9, vcc, v12, v5, vcc
	ds_read_b128 v[4:7], v10 offset:12240
	s_waitcnt lgkmcnt(1)
	global_store_dwordx4 v[8:9], v[0:3], off
	s_nop 0
	v_add_u32_e32 v0, 0x2fd, v106
	v_mov_b32_e32 v1, v107
	v_lshlrev_b64 v[0:1], 4, v[0:1]
	v_add_co_u32_e32 v0, vcc, v11, v0
	v_addc_co_u32_e32 v1, vcc, v12, v1, vcc
	s_waitcnt lgkmcnt(0)
	global_store_dwordx4 v[0:1], v[4:7], off
	ds_read_b128 v[0:3], v10 offset:13600
	v_add_u32_e32 v4, 0x352, v106
	v_mov_b32_e32 v5, v107
	v_lshlrev_b64 v[4:5], 4, v[4:5]
	v_add_co_u32_e32 v8, vcc, v11, v4
	v_addc_co_u32_e32 v9, vcc, v12, v5, vcc
	ds_read_b128 v[4:7], v10 offset:14960
	s_waitcnt lgkmcnt(1)
	global_store_dwordx4 v[8:9], v[0:3], off
	s_nop 0
	v_add_u32_e32 v0, 0x3a7, v106
	v_mov_b32_e32 v1, v107
	v_lshlrev_b64 v[0:1], 4, v[0:1]
	v_add_co_u32_e32 v0, vcc, v11, v0
	v_addc_co_u32_e32 v1, vcc, v12, v1, vcc
	s_waitcnt lgkmcnt(0)
	global_store_dwordx4 v[0:1], v[4:7], off
	ds_read_b128 v[0:3], v10 offset:16320
	v_add_u32_e32 v4, 0x3fc, v106
	v_mov_b32_e32 v5, v107
	v_lshlrev_b64 v[4:5], 4, v[4:5]
	v_add_co_u32_e32 v8, vcc, v11, v4
	v_addc_co_u32_e32 v9, vcc, v12, v5, vcc
	ds_read_b128 v[4:7], v10 offset:17680
	s_waitcnt lgkmcnt(1)
	global_store_dwordx4 v[8:9], v[0:3], off
	s_nop 0
	v_add_u32_e32 v0, 0x451, v106
	v_mov_b32_e32 v1, v107
	v_lshlrev_b64 v[0:1], 4, v[0:1]
	v_add_co_u32_e32 v0, vcc, v11, v0
	v_addc_co_u32_e32 v1, vcc, v12, v1, vcc
	s_waitcnt lgkmcnt(0)
	global_store_dwordx4 v[0:1], v[4:7], off
	ds_read_b128 v[0:3], v10 offset:19040
	v_add_u32_e32 v4, 0x4a6, v106
	v_mov_b32_e32 v5, v107
	v_lshlrev_b64 v[4:5], 4, v[4:5]
	v_add_u32_e32 v106, 0x4fb, v106
	v_add_co_u32_e32 v8, vcc, v11, v4
	v_addc_co_u32_e32 v9, vcc, v12, v5, vcc
	ds_read_b128 v[4:7], v10 offset:20400
	s_waitcnt lgkmcnt(1)
	global_store_dwordx4 v[8:9], v[0:3], off
	s_nop 0
	v_lshlrev_b64 v[0:1], 4, v[106:107]
	v_add_co_u32_e32 v0, vcc, v11, v0
	v_addc_co_u32_e32 v1, vcc, v12, v1, vcc
	s_waitcnt lgkmcnt(0)
	global_store_dwordx4 v[0:1], v[4:7], off
.LBB0_26:
	s_endpgm
	.section	.rodata,"a",@progbits
	.p2align	6, 0x0
	.amdhsa_kernel fft_rtc_back_len1360_factors_17_5_16_wgs_255_tpt_85_halfLds_dp_op_CI_CI_unitstride_sbrr_C2R_dirReg
		.amdhsa_group_segment_fixed_size 0
		.amdhsa_private_segment_fixed_size 84
		.amdhsa_kernarg_size 104
		.amdhsa_user_sgpr_count 6
		.amdhsa_user_sgpr_private_segment_buffer 1
		.amdhsa_user_sgpr_dispatch_ptr 0
		.amdhsa_user_sgpr_queue_ptr 0
		.amdhsa_user_sgpr_kernarg_segment_ptr 1
		.amdhsa_user_sgpr_dispatch_id 0
		.amdhsa_user_sgpr_flat_scratch_init 0
		.amdhsa_user_sgpr_private_segment_size 0
		.amdhsa_uses_dynamic_stack 0
		.amdhsa_system_sgpr_private_segment_wavefront_offset 1
		.amdhsa_system_sgpr_workgroup_id_x 1
		.amdhsa_system_sgpr_workgroup_id_y 0
		.amdhsa_system_sgpr_workgroup_id_z 0
		.amdhsa_system_sgpr_workgroup_info 0
		.amdhsa_system_vgpr_workitem_id 0
		.amdhsa_next_free_vgpr 255
		.amdhsa_next_free_sgpr 64
		.amdhsa_reserve_vcc 1
		.amdhsa_reserve_flat_scratch 0
		.amdhsa_float_round_mode_32 0
		.amdhsa_float_round_mode_16_64 0
		.amdhsa_float_denorm_mode_32 3
		.amdhsa_float_denorm_mode_16_64 3
		.amdhsa_dx10_clamp 1
		.amdhsa_ieee_mode 1
		.amdhsa_fp16_overflow 0
		.amdhsa_exception_fp_ieee_invalid_op 0
		.amdhsa_exception_fp_denorm_src 0
		.amdhsa_exception_fp_ieee_div_zero 0
		.amdhsa_exception_fp_ieee_overflow 0
		.amdhsa_exception_fp_ieee_underflow 0
		.amdhsa_exception_fp_ieee_inexact 0
		.amdhsa_exception_int_div_zero 0
	.end_amdhsa_kernel
	.text
.Lfunc_end0:
	.size	fft_rtc_back_len1360_factors_17_5_16_wgs_255_tpt_85_halfLds_dp_op_CI_CI_unitstride_sbrr_C2R_dirReg, .Lfunc_end0-fft_rtc_back_len1360_factors_17_5_16_wgs_255_tpt_85_halfLds_dp_op_CI_CI_unitstride_sbrr_C2R_dirReg
                                        ; -- End function
	.section	.AMDGPU.csdata,"",@progbits
; Kernel info:
; codeLenInByte = 16348
; NumSgprs: 68
; NumVgprs: 255
; ScratchSize: 84
; MemoryBound: 0
; FloatMode: 240
; IeeeMode: 1
; LDSByteSize: 0 bytes/workgroup (compile time only)
; SGPRBlocks: 8
; VGPRBlocks: 63
; NumSGPRsForWavesPerEU: 68
; NumVGPRsForWavesPerEU: 255
; Occupancy: 1
; WaveLimiterHint : 1
; COMPUTE_PGM_RSRC2:SCRATCH_EN: 1
; COMPUTE_PGM_RSRC2:USER_SGPR: 6
; COMPUTE_PGM_RSRC2:TRAP_HANDLER: 0
; COMPUTE_PGM_RSRC2:TGID_X_EN: 1
; COMPUTE_PGM_RSRC2:TGID_Y_EN: 0
; COMPUTE_PGM_RSRC2:TGID_Z_EN: 0
; COMPUTE_PGM_RSRC2:TIDIG_COMP_CNT: 0
	.type	__hip_cuid_6b7ef36a0f33cdb7,@object ; @__hip_cuid_6b7ef36a0f33cdb7
	.section	.bss,"aw",@nobits
	.globl	__hip_cuid_6b7ef36a0f33cdb7
__hip_cuid_6b7ef36a0f33cdb7:
	.byte	0                               ; 0x0
	.size	__hip_cuid_6b7ef36a0f33cdb7, 1

	.ident	"AMD clang version 19.0.0git (https://github.com/RadeonOpenCompute/llvm-project roc-6.4.0 25133 c7fe45cf4b819c5991fe208aaa96edf142730f1d)"
	.section	".note.GNU-stack","",@progbits
	.addrsig
	.addrsig_sym __hip_cuid_6b7ef36a0f33cdb7
	.amdgpu_metadata
---
amdhsa.kernels:
  - .args:
      - .actual_access:  read_only
        .address_space:  global
        .offset:         0
        .size:           8
        .value_kind:     global_buffer
      - .offset:         8
        .size:           8
        .value_kind:     by_value
      - .actual_access:  read_only
        .address_space:  global
        .offset:         16
        .size:           8
        .value_kind:     global_buffer
      - .actual_access:  read_only
        .address_space:  global
        .offset:         24
        .size:           8
        .value_kind:     global_buffer
      - .actual_access:  read_only
        .address_space:  global
        .offset:         32
        .size:           8
        .value_kind:     global_buffer
      - .offset:         40
        .size:           8
        .value_kind:     by_value
      - .actual_access:  read_only
        .address_space:  global
        .offset:         48
        .size:           8
        .value_kind:     global_buffer
      - .actual_access:  read_only
        .address_space:  global
        .offset:         56
        .size:           8
        .value_kind:     global_buffer
      - .offset:         64
        .size:           4
        .value_kind:     by_value
      - .actual_access:  read_only
        .address_space:  global
        .offset:         72
        .size:           8
        .value_kind:     global_buffer
      - .actual_access:  read_only
        .address_space:  global
        .offset:         80
        .size:           8
        .value_kind:     global_buffer
      - .actual_access:  read_only
        .address_space:  global
        .offset:         88
        .size:           8
        .value_kind:     global_buffer
      - .actual_access:  write_only
        .address_space:  global
        .offset:         96
        .size:           8
        .value_kind:     global_buffer
    .group_segment_fixed_size: 0
    .kernarg_segment_align: 8
    .kernarg_segment_size: 104
    .language:       OpenCL C
    .language_version:
      - 2
      - 0
    .max_flat_workgroup_size: 255
    .name:           fft_rtc_back_len1360_factors_17_5_16_wgs_255_tpt_85_halfLds_dp_op_CI_CI_unitstride_sbrr_C2R_dirReg
    .private_segment_fixed_size: 84
    .sgpr_count:     68
    .sgpr_spill_count: 0
    .symbol:         fft_rtc_back_len1360_factors_17_5_16_wgs_255_tpt_85_halfLds_dp_op_CI_CI_unitstride_sbrr_C2R_dirReg.kd
    .uniform_work_group_size: 1
    .uses_dynamic_stack: false
    .vgpr_count:     255
    .vgpr_spill_count: 20
    .wavefront_size: 64
amdhsa.target:   amdgcn-amd-amdhsa--gfx906
amdhsa.version:
  - 1
  - 2
...

	.end_amdgpu_metadata
